;; amdgpu-corpus repo=ROCm/rocFFT kind=compiled arch=gfx1100 opt=O3
	.text
	.amdgcn_target "amdgcn-amd-amdhsa--gfx1100"
	.amdhsa_code_object_version 6
	.protected	bluestein_single_fwd_len605_dim1_dp_op_CI_CI ; -- Begin function bluestein_single_fwd_len605_dim1_dp_op_CI_CI
	.globl	bluestein_single_fwd_len605_dim1_dp_op_CI_CI
	.p2align	8
	.type	bluestein_single_fwd_len605_dim1_dp_op_CI_CI,@function
bluestein_single_fwd_len605_dim1_dp_op_CI_CI: ; @bluestein_single_fwd_len605_dim1_dp_op_CI_CI
; %bb.0:
	s_load_b128 s[16:19], s[0:1], 0x28
	v_mul_u32_u24_e32 v1, 0x4a8, v0
	s_mov_b32 s2, exec_lo
	v_mov_b32_e32 v3, 0
	s_delay_alu instid0(VALU_DEP_2) | instskip(NEXT) | instid1(VALU_DEP_1)
	v_lshrrev_b32_e32 v1, 16, v1
	v_add_nc_u32_e32 v2, s15, v1
	s_waitcnt lgkmcnt(0)
	s_delay_alu instid0(VALU_DEP_1)
	v_cmpx_gt_u64_e64 s[16:17], v[2:3]
	s_cbranch_execz .LBB0_10
; %bb.1:
	s_clause 0x1
	s_load_b128 s[4:7], s[0:1], 0x18
	s_load_b128 s[8:11], s[0:1], 0x0
	v_mul_lo_u16 v1, v1, 55
	v_mov_b32_e32 v3, v2
	s_mov_b32 s22, 0xf8bb580b
	s_mov_b32 s23, 0xbfe14ced
	;; [unrolled: 1-line block ×3, first 2 shown]
	v_sub_nc_u16 v72, v0, v1
	scratch_store_b64 off, v[3:4], off offset:148 ; 8-byte Folded Spill
	s_mov_b32 s21, 0xbfefac9e
	s_mov_b32 s24, 0xbb3a28a1
	;; [unrolled: 1-line block ×3, first 2 shown]
	v_and_b32_e32 v6, 0xffff, v72
	s_mov_b32 s26, 0xfd768dbf
	s_mov_b32 s27, 0xbfd207e7
	;; [unrolled: 1-line block ×7, first 2 shown]
	s_waitcnt lgkmcnt(0)
	s_load_b128 s[12:15], s[4:5], 0x0
	s_mov_b32 s31, 0x3fefac9e
	s_mov_b32 s30, s20
	;; [unrolled: 1-line block ×3, first 2 shown]
	s_waitcnt lgkmcnt(0)
	v_mad_u64_u32 v[20:21], null, s14, v2, 0
	v_mad_u64_u32 v[22:23], null, s12, v6, 0
	s_mul_hi_u32 s3, s12, 0x370
	s_mul_i32 s4, s12, 0x370
	s_delay_alu instid0(VALU_DEP_1) | instskip(SKIP_1) | instid1(VALU_DEP_2)
	v_dual_mov_b32 v1, v23 :: v_dual_mov_b32 v0, v21
	v_lshlrev_b32_e32 v193, 4, v6
	v_mad_u64_u32 v[23:24], null, s13, v6, v[1:2]
	s_delay_alu instid0(VALU_DEP_3) | instskip(NEXT) | instid1(VALU_DEP_3)
	v_mad_u64_u32 v[8:9], null, s15, v2, v[0:1]
	v_add_co_u32 v7, s2, s8, v193
	s_delay_alu instid0(VALU_DEP_1) | instskip(NEXT) | instid1(VALU_DEP_4)
	v_add_co_ci_u32_e64 v17, null, s9, 0, s2
	v_lshlrev_b64 v[22:23], 4, v[22:23]
	s_delay_alu instid0(VALU_DEP_3) | instskip(SKIP_1) | instid1(VALU_DEP_4)
	v_add_co_u32 v36, vcc_lo, 0x1000, v7
	v_mov_b32_e32 v21, v8
	v_add_co_ci_u32_e32 v37, vcc_lo, 0, v17, vcc_lo
	s_mul_i32 s2, s13, 0x370
	s_clause 0x1
	global_load_b128 v[2:5], v193, s[8:9]
	global_load_b128 v[9:12], v193, s[8:9] offset:880
	v_lshlrev_b64 v[20:21], 4, v[20:21]
	s_add_i32 s3, s3, s2
	s_clause 0x2
	global_load_b128 v[13:16], v193, s[8:9] offset:1760
	global_load_b128 v[24:27], v193, s[8:9] offset:2640
	;; [unrolled: 1-line block ×3, first 2 shown]
	s_clause 0x1
	scratch_store_b32 off, v7, off offset:252
	scratch_store_b32 off, v17, off offset:256
	s_mov_b32 s8, 0xd9c712b6
	v_add_co_u32 v0, vcc_lo, s18, v20
	v_add_co_ci_u32_e32 v1, vcc_lo, s19, v21, vcc_lo
	s_mov_b32 s19, 0xbfed1bb4
	s_delay_alu instid0(VALU_DEP_2) | instskip(NEXT) | instid1(VALU_DEP_2)
	v_add_co_u32 v38, vcc_lo, v0, v22
	v_add_co_ci_u32_e32 v39, vcc_lo, v1, v23, vcc_lo
	s_mov_b32 s18, 0x8eee2c13
	s_delay_alu instid0(VALU_DEP_2) | instskip(NEXT) | instid1(VALU_DEP_2)
	v_add_co_u32 v40, vcc_lo, v38, s4
	v_add_co_ci_u32_e32 v41, vcc_lo, s3, v39, vcc_lo
	v_add_co_u32 v0, vcc_lo, 0x2000, v7
	v_add_co_ci_u32_e32 v1, vcc_lo, 0, v17, vcc_lo
	s_delay_alu instid0(VALU_DEP_4) | instskip(NEXT) | instid1(VALU_DEP_4)
	v_add_co_u32 v42, vcc_lo, v40, s4
	v_add_co_ci_u32_e32 v43, vcc_lo, s3, v41, vcc_lo
	s_clause 0x1
	global_load_b128 v[133:136], v[36:37], off offset:304
	global_load_b128 v[17:20], v[36:37], off offset:1184
	v_add_co_u32 v56, vcc_lo, v42, s4
	v_add_co_ci_u32_e32 v57, vcc_lo, s3, v43, vcc_lo
	s_clause 0x1
	global_load_b128 v[137:140], v[36:37], off offset:2064
	global_load_b128 v[32:35], v[36:37], off offset:2944
	v_add_co_u32 v60, vcc_lo, v56, s4
	v_add_co_ci_u32_e32 v61, vcc_lo, s3, v57, vcc_lo
	s_clause 0x1
	global_load_b128 v[44:47], v[38:39], off
	global_load_b128 v[48:51], v[40:41], off
	v_add_co_u32 v38, vcc_lo, v60, s4
	v_add_co_ci_u32_e32 v39, vcc_lo, s3, v61, vcc_lo
	s_clause 0x1
	global_load_b128 v[52:55], v[42:43], off
	global_load_b128 v[56:59], v[56:57], off
	v_add_co_u32 v40, vcc_lo, v38, s4
	v_add_co_ci_u32_e32 v41, vcc_lo, s3, v39, vcc_lo
	global_load_b128 v[64:67], v[38:39], off
	v_add_co_u32 v42, vcc_lo, v40, s4
	v_add_co_ci_u32_e32 v43, vcc_lo, s3, v41, vcc_lo
	;; [unrolled: 3-line block ×5, first 2 shown]
	global_load_b128 v[77:80], v[38:39], off
	global_load_b128 v[36:39], v[36:37], off offset:3824
	global_load_b128 v[81:84], v[40:41], off
	scratch_store_b64 off, v[0:1], off offset:260 ; 8-byte Folded Spill
	global_load_b128 v[40:43], v[0:1], off offset:608
	global_load_b128 v[85:88], v[85:86], off
	s_load_b128 s[4:7], s[6:7], 0x0
	s_mov_b32 s2, 0x8764f0ba
	s_mov_b32 s3, 0x3feaeb8c
	;; [unrolled: 1-line block ×7, first 2 shown]
	v_mul_lo_u16 v0, v72, 11
	v_cmp_gt_u16_e32 vcc_lo, 11, v72
	s_delay_alu instid0(VALU_DEP_2)
	v_and_b32_e32 v0, 0xffff, v0
	s_waitcnt vmcnt(21)
	scratch_store_b128 off, v[2:5], off offset:64 ; 16-byte Folded Spill
	s_waitcnt vmcnt(20)
	scratch_store_b128 off, v[9:12], off offset:80 ; 16-byte Folded Spill
	;; [unrolled: 2-line block ×9, first 2 shown]
	s_waitcnt vmcnt(12)
	v_mul_f64 v[89:90], v[46:47], v[4:5]
	v_mul_f64 v[91:92], v[44:45], v[4:5]
	s_waitcnt vmcnt(11)
	v_mul_f64 v[93:94], v[50:51], v[11:12]
	v_mul_f64 v[95:96], v[48:49], v[11:12]
	;; [unrolled: 3-line block ×8, first 2 shown]
	s_waitcnt vmcnt(4)
	v_mul_f64 v[121:122], v[79:80], v[34:35]
	s_waitcnt vmcnt(3)
	scratch_store_b128 off, v[36:39], off offset:220 ; 16-byte Folded Spill
	v_mul_f64 v[123:124], v[77:78], v[34:35]
	s_waitcnt vmcnt(2)
	v_mul_f64 v[125:126], v[83:84], v[38:39]
	v_mul_f64 v[127:128], v[81:82], v[38:39]
	s_waitcnt vmcnt(0)
	v_mul_f64 v[129:130], v[87:88], v[42:43]
	v_mul_f64 v[131:132], v[85:86], v[42:43]
	scratch_store_b128 off, v[40:43], off offset:236 ; 16-byte Folded Spill
	v_fma_f64 v[44:45], v[44:45], v[2:3], v[89:90]
	v_fma_f64 v[46:47], v[46:47], v[2:3], -v[91:92]
	v_fma_f64 v[48:49], v[48:49], v[9:10], v[93:94]
	v_fma_f64 v[50:51], v[50:51], v[9:10], -v[95:96]
	;; [unrolled: 2-line block ×11, first 2 shown]
	ds_store_b128 v193, v[44:47]
	ds_store_b128 v193, v[48:51] offset:880
	ds_store_b128 v193, v[52:55] offset:1760
	;; [unrolled: 1-line block ×10, first 2 shown]
	s_waitcnt lgkmcnt(0)
	s_waitcnt_vscnt null, 0x0
	s_barrier
	buffer_gl0_inv
	ds_load_b128 v[48:51], v193
	ds_load_b128 v[68:71], v193 offset:880
	ds_load_b128 v[44:47], v193 offset:8800
	;; [unrolled: 1-line block ×10, first 2 shown]
	s_waitcnt lgkmcnt(0)
	s_barrier
	buffer_gl0_inv
	v_add_f64 v[89:90], v[48:49], v[68:69]
	v_add_f64 v[91:92], v[50:51], v[70:71]
	v_add_f64 v[93:94], v[70:71], -v[46:47]
	v_add_f64 v[95:96], v[68:69], -v[44:45]
	;; [unrolled: 1-line block ×4, first 2 shown]
	v_add_f64 v[105:106], v[77:78], v[56:57]
	v_add_f64 v[107:108], v[79:80], v[58:59]
	v_add_f64 v[97:98], v[73:74], -v[52:53]
	v_add_f64 v[99:100], v[75:76], -v[54:55]
	v_add_f64 v[68:69], v[68:69], v[44:45]
	v_add_f64 v[70:71], v[70:71], v[46:47]
	v_add_f64 v[121:122], v[85:86], -v[64:65]
	v_add_f64 v[109:110], v[81:82], v[60:61]
	v_add_f64 v[111:112], v[83:84], -v[62:63]
	v_add_f64 v[113:114], v[81:82], -v[60:61]
	v_add_f64 v[115:116], v[83:84], v[62:63]
	v_add_f64 v[117:118], v[85:86], v[64:65]
	;; [unrolled: 1-line block ×3, first 2 shown]
	v_add_f64 v[123:124], v[87:88], -v[66:67]
	v_add_f64 v[89:90], v[89:90], v[73:74]
	v_add_f64 v[91:92], v[91:92], v[75:76]
	v_mul_f64 v[125:126], v[93:94], s[22:23]
	v_mul_f64 v[127:128], v[95:96], s[22:23]
	;; [unrolled: 1-line block ×12, first 2 shown]
	s_mov_b32 s19, 0x3fed1bb4
	v_add_f64 v[73:74], v[73:74], v[52:53]
	v_add_f64 v[75:76], v[75:76], v[54:55]
	v_mul_f64 v[145:146], v[99:100], s[24:25]
	v_mul_f64 v[150:151], v[97:98], s[24:25]
	v_mul_f64 v[195:196], v[121:122], s[26:27]
	v_mul_f64 v[199:200], v[121:122], s[28:29]
	v_mul_f64 v[203:204], v[121:122], s[24:25]
	v_mul_f64 v[207:208], v[121:122], s[20:21]
	v_mul_f64 v[154:155], v[99:100], s[30:31]
	v_mul_f64 v[156:157], v[97:98], s[30:31]
	v_mul_f64 v[158:159], v[101:102], s[20:21]
	v_mul_f64 v[160:161], v[103:104], s[20:21]
	v_mul_f64 v[162:163], v[101:102], s[34:35]
	v_mul_f64 v[164:165], v[103:104], s[34:35]
	v_mul_f64 v[166:167], v[101:102], s[22:23]
	v_mul_f64 v[168:169], v[103:104], s[22:23]
	v_mul_f64 v[170:171], v[101:102], s[24:25]
	v_mul_f64 v[172:173], v[103:104], s[24:25]
	v_mul_f64 v[101:102], v[101:102], s[18:19]
	v_mul_f64 v[103:104], v[103:104], s[18:19]
	v_mul_f64 v[174:175], v[111:112], s[24:25]
	v_mul_f64 v[176:177], v[113:114], s[24:25]
	v_mul_f64 v[178:179], v[111:112], s[30:31]
	v_add_f64 v[77:78], v[89:90], v[77:78]
	v_add_f64 v[79:80], v[91:92], v[79:80]
	v_mul_f64 v[89:90], v[99:100], s[34:35]
	v_mul_f64 v[91:92], v[97:98], s[34:35]
	v_fma_f64 v[209:210], v[68:69], s[8:9], -v[129:130]
	v_fma_f64 v[211:212], v[70:71], s[8:9], v[131:132]
	v_fma_f64 v[213:214], v[68:69], s[12:13], -v[133:134]
	v_fma_f64 v[215:216], v[70:71], s[12:13], v[135:136]
	v_fma_f64 v[129:130], v[68:69], s[8:9], v[129:130]
	;; [unrolled: 1-line block ×3, first 2 shown]
	v_fma_f64 v[217:218], v[68:69], s[14:15], -v[137:138]
	v_fma_f64 v[219:220], v[70:71], s[14:15], v[139:140]
	v_mul_f64 v[99:100], v[99:100], s[28:29]
	v_mul_f64 v[97:98], v[97:98], s[28:29]
	v_fma_f64 v[137:138], v[68:69], s[14:15], v[137:138]
	v_fma_f64 v[221:222], v[68:69], s[16:17], -v[93:94]
	v_fma_f64 v[223:224], v[70:71], s[16:17], v[95:96]
	v_fma_f64 v[131:132], v[70:71], s[8:9], -v[131:132]
	v_fma_f64 v[135:136], v[70:71], s[12:13], -v[135:136]
	;; [unrolled: 1-line block ×4, first 2 shown]
	v_fma_f64 v[227:228], v[75:76], s[14:15], v[150:151]
	v_fma_f64 v[145:146], v[73:74], s[14:15], v[145:146]
	v_fma_f64 v[233:234], v[73:74], s[12:13], -v[154:155]
	v_fma_f64 v[235:236], v[75:76], s[12:13], v[156:157]
	v_fma_f64 v[154:155], v[73:74], s[12:13], v[154:155]
	v_fma_f64 v[150:151], v[75:76], s[14:15], -v[150:151]
	v_mul_f64 v[180:181], v[113:114], s[30:31]
	v_mul_f64 v[182:183], v[111:112], s[22:23]
	;; [unrolled: 1-line block ×7, first 2 shown]
	v_fma_f64 v[237:238], v[105:106], s[16:17], -v[162:163]
	v_fma_f64 v[239:240], v[107:108], s[16:17], v[164:165]
	v_fma_f64 v[162:163], v[105:106], s[16:17], v[162:163]
	v_fma_f64 v[164:165], v[107:108], s[16:17], -v[164:165]
	v_add_f64 v[77:78], v[77:78], v[81:82]
	v_add_f64 v[79:80], v[79:80], v[83:84]
	v_mul_f64 v[81:82], v[121:122], s[18:19]
	v_fma_f64 v[83:84], v[68:69], s[2:3], -v[125:126]
	v_fma_f64 v[121:122], v[70:71], s[2:3], v[127:128]
	v_fma_f64 v[125:126], v[68:69], s[2:3], v[125:126]
	v_fma_f64 v[127:128], v[70:71], s[2:3], -v[127:128]
	v_fma_f64 v[68:69], v[68:69], s[16:17], v[93:94]
	v_fma_f64 v[70:71], v[70:71], s[16:17], -v[95:96]
	v_fma_f64 v[93:94], v[73:74], s[8:9], -v[141:142]
	v_fma_f64 v[95:96], v[75:76], s[8:9], v[143:144]
	v_fma_f64 v[141:142], v[73:74], s[8:9], v[141:142]
	v_fma_f64 v[143:144], v[75:76], s[8:9], -v[143:144]
	v_add_f64 v[209:210], v[48:49], v[209:210]
	v_add_f64 v[211:212], v[50:51], v[211:212]
	v_fma_f64 v[229:230], v[73:74], s[16:17], -v[89:90]
	v_fma_f64 v[231:232], v[75:76], s[16:17], v[91:92]
	v_add_f64 v[213:214], v[48:49], v[213:214]
	v_add_f64 v[215:216], v[50:51], v[215:216]
	v_fma_f64 v[89:90], v[73:74], s[16:17], v[89:90]
	v_add_f64 v[129:130], v[48:49], v[129:130]
	v_add_f64 v[133:134], v[48:49], v[133:134]
	v_add_f64 v[217:218], v[48:49], v[217:218]
	v_add_f64 v[219:220], v[50:51], v[219:220]
	v_add_f64 v[137:138], v[48:49], v[137:138]
	v_add_f64 v[221:222], v[48:49], v[221:222]
	v_add_f64 v[223:224], v[50:51], v[223:224]
	v_fma_f64 v[91:92], v[75:76], s[16:17], -v[91:92]
	v_add_f64 v[135:136], v[50:51], v[135:136]
	v_add_f64 v[131:132], v[50:51], v[131:132]
	v_fma_f64 v[241:242], v[105:106], s[2:3], -v[166:167]
	v_fma_f64 v[243:244], v[107:108], s[2:3], v[168:169]
	v_fma_f64 v[166:167], v[105:106], s[2:3], v[166:167]
	v_fma_f64 v[168:169], v[107:108], s[2:3], -v[168:169]
	v_fma_f64 v[249:250], v[105:106], s[8:9], -v[101:102]
	v_fma_f64 v[101:102], v[105:106], s[8:9], v[101:102]
	v_mul_f64 v[197:198], v[123:124], s[28:29]
	v_fma_f64 v[245:246], v[109:110], s[12:13], -v[178:179]
	v_add_f64 v[77:78], v[77:78], v[85:86]
	v_add_f64 v[79:80], v[79:80], v[87:88]
	v_fma_f64 v[85:86], v[75:76], s[12:13], -v[156:157]
	v_add_f64 v[83:84], v[48:49], v[83:84]
	v_fma_f64 v[87:88], v[73:74], s[2:3], -v[99:100]
	v_add_f64 v[125:126], v[48:49], v[125:126]
	v_add_f64 v[127:128], v[50:51], v[127:128]
	v_fma_f64 v[156:157], v[75:76], s[2:3], v[97:98]
	v_fma_f64 v[73:74], v[73:74], s[2:3], v[99:100]
	v_fma_f64 v[75:76], v[75:76], s[2:3], -v[97:98]
	v_add_f64 v[48:49], v[48:49], v[68:69]
	v_add_f64 v[68:69], v[50:51], v[70:71]
	;; [unrolled: 1-line block ×4, first 2 shown]
	v_fma_f64 v[97:98], v[105:106], s[12:13], -v[158:159]
	v_fma_f64 v[99:100], v[107:108], s[12:13], v[160:161]
	v_fma_f64 v[158:159], v[105:106], s[12:13], v[158:159]
	v_fma_f64 v[160:161], v[107:108], s[12:13], -v[160:161]
	v_fma_f64 v[121:122], v[105:106], s[14:15], v[170:171]
	v_fma_f64 v[139:140], v[107:108], s[14:15], -v[172:173]
	v_add_f64 v[129:130], v[145:146], v[129:130]
	v_add_f64 v[89:90], v[89:90], v[133:134]
	v_add_f64 v[133:134], v[233:234], v[217:218]
	v_add_f64 v[145:146], v[235:236], v[219:220]
	v_add_f64 v[137:138], v[154:155], v[137:138]
	v_fma_f64 v[247:248], v[115:116], s[12:13], v[180:181]
	v_fma_f64 v[178:179], v[109:110], s[12:13], v[178:179]
	v_fma_f64 v[180:181], v[115:116], s[12:13], -v[180:181]
	v_mul_f64 v[201:202], v[123:124], s[24:25]
	v_mul_f64 v[190:191], v[123:124], s[26:27]
	;; [unrolled: 1-line block ×4, first 2 shown]
	v_add_f64 v[64:65], v[77:78], v[64:65]
	v_add_f64 v[66:67], v[79:80], v[66:67]
	v_fma_f64 v[77:78], v[105:106], s[14:15], -v[170:171]
	v_fma_f64 v[79:80], v[107:108], s[14:15], v[172:173]
	v_fma_f64 v[105:106], v[107:108], s[8:9], v[103:104]
	v_fma_f64 v[103:104], v[107:108], s[8:9], -v[103:104]
	v_add_f64 v[83:84], v[93:94], v[83:84]
	v_add_f64 v[93:94], v[141:142], v[125:126]
	;; [unrolled: 1-line block ×15, first 2 shown]
	v_fma_f64 v[170:171], v[109:110], s[14:15], -v[174:175]
	v_fma_f64 v[172:173], v[115:116], s[14:15], v[176:177]
	v_fma_f64 v[174:175], v[109:110], s[14:15], v[174:175]
	v_fma_f64 v[176:177], v[115:116], s[14:15], -v[176:177]
	v_fma_f64 v[85:86], v[109:110], s[2:3], v[182:183]
	v_fma_f64 v[91:92], v[115:116], s[2:3], -v[184:185]
	v_fma_f64 v[95:96], v[109:110], s[16:17], -v[186:187]
	v_fma_f64 v[131:132], v[115:116], s[16:17], v[188:189]
	v_fma_f64 v[135:136], v[109:110], s[16:17], v[186:187]
	v_fma_f64 v[150:151], v[115:116], s[16:17], -v[188:189]
	v_fma_f64 v[188:189], v[109:110], s[8:9], -v[111:112]
	v_add_f64 v[89:90], v[101:102], v[89:90]
	v_add_f64 v[101:102], v[241:242], v[133:134]
	;; [unrolled: 1-line block ×3, first 2 shown]
	v_fma_f64 v[156:157], v[117:118], s[16:17], -v[190:191]
	v_fma_f64 v[186:187], v[119:120], s[16:17], -v[195:196]
	v_fma_f64 v[137:138], v[117:118], s[14:15], v[201:202]
	v_add_f64 v[60:61], v[64:65], v[60:61]
	v_add_f64 v[62:63], v[66:67], v[62:63]
	v_fma_f64 v[64:65], v[109:110], s[2:3], -v[182:183]
	v_fma_f64 v[66:67], v[115:116], s[2:3], v[184:185]
	v_fma_f64 v[109:110], v[109:110], s[8:9], v[111:112]
	;; [unrolled: 1-line block ×3, first 2 shown]
	v_fma_f64 v[113:114], v[115:116], s[8:9], -v[113:114]
	v_add_f64 v[83:84], v[97:98], v[83:84]
	v_add_f64 v[97:98], v[160:161], v[107:108]
	;; [unrolled: 1-line block ×17, first 2 shown]
	v_fma_f64 v[103:104], v[117:118], s[14:15], -v[201:202]
	v_fma_f64 v[121:122], v[119:120], s[14:15], v[203:204]
	v_fma_f64 v[158:159], v[117:118], s[8:9], -v[123:124]
	v_fma_f64 v[160:161], v[119:120], s[8:9], v[81:82]
	v_fma_f64 v[141:142], v[117:118], s[12:13], -v[205:206]
	v_fma_f64 v[143:144], v[119:120], s[12:13], v[207:208]
	v_fma_f64 v[182:183], v[119:120], s[16:17], v[195:196]
	v_fma_f64 v[184:185], v[117:118], s[16:17], v[190:191]
	v_add_f64 v[85:86], v[85:86], v[89:90]
	v_add_f64 v[89:90], v[95:96], v[101:102]
	v_fma_f64 v[99:100], v[119:120], s[2:3], -v[199:200]
	v_fma_f64 v[139:140], v[119:120], s[14:15], -v[203:204]
	v_fma_f64 v[145:146], v[117:118], s[12:13], v[205:206]
	v_fma_f64 v[154:155], v[119:120], s[12:13], -v[207:208]
	v_add_f64 v[56:57], v[60:61], v[56:57]
	v_add_f64 v[58:59], v[62:63], v[58:59]
	v_fma_f64 v[60:61], v[117:118], s[2:3], -v[197:198]
	v_fma_f64 v[62:63], v[119:120], s[2:3], v[199:200]
	v_fma_f64 v[119:120], v[119:120], s[8:9], -v[81:82]
	v_fma_f64 v[87:88], v[117:118], s[2:3], v[197:198]
	v_fma_f64 v[117:118], v[117:118], s[8:9], v[123:124]
	v_add_f64 v[81:82], v[170:171], v[83:84]
	v_add_f64 v[97:98], v[176:177], v[97:98]
	;; [unrolled: 1-line block ×18, first 2 shown]
	s_load_b64 s[2:3], s[0:1], 0x38
	v_add_f64 v[68:69], v[158:159], v[89:90]
	v_add_f64 v[129:130], v[56:57], v[52:53]
	;; [unrolled: 1-line block ×22, first 2 shown]
	v_lshlrev_b32_e32 v160, 4, v0
                                        ; implicit-def: $vgpr104_vgpr105
                                        ; implicit-def: $vgpr108_vgpr109
                                        ; implicit-def: $vgpr112_vgpr113
	v_add_f64 v[44:45], v[129:130], v[44:45]
	v_add_f64 v[46:47], v[131:132], v[46:47]
	ds_store_b128 v160, v[52:55] offset:32
	ds_store_b128 v160, v[60:63] offset:48
	;; [unrolled: 1-line block ×9, first 2 shown]
	ds_store_b128 v160, v[44:47]
	ds_store_b128 v160, v[48:51] offset:16
	s_waitcnt lgkmcnt(0)
	s_barrier
	buffer_gl0_inv
	ds_load_b128 v[100:103], v193
	ds_load_b128 v[96:99], v193 offset:880
	ds_load_b128 v[76:79], v193 offset:1936
	;; [unrolled: 1-line block ×9, first 2 shown]
                                        ; implicit-def: $vgpr52_vgpr53
	s_and_saveexec_b32 s0, vcc_lo
	s_cbranch_execz .LBB0_3
; %bb.2:
	ds_load_b128 v[92:95], v193 offset:1760
	ds_load_b128 v[104:107], v193 offset:3696
	ds_load_b128 v[52:55], v193 offset:5632
	ds_load_b128 v[108:111], v193 offset:7568
	ds_load_b128 v[112:115], v193 offset:9504
.LBB0_3:
	s_or_b32 exec_lo, exec_lo, s0
	v_and_b32_e32 v0, 0xff, v6
	s_mov_b32 s12, 0x134454ff
	s_mov_b32 s13, 0x3fee6f0e
	;; [unrolled: 1-line block ×4, first 2 shown]
	v_mul_lo_u16 v0, 0x75, v0
	s_mov_b32 s0, 0x4755a5e
	s_mov_b32 s1, 0x3fe2cf23
	s_mov_b32 s9, 0xbfe2cf23
	s_mov_b32 s8, s0
	v_lshrrev_b16 v0, 8, v0
	s_mov_b32 s16, 0x372fe950
	s_mov_b32 s17, 0x3fd3c6ef
	s_delay_alu instid0(VALU_DEP_1) | instskip(NEXT) | instid1(VALU_DEP_1)
	v_sub_nc_u16 v1, v6, v0
	v_lshrrev_b16 v1, 1, v1
	s_delay_alu instid0(VALU_DEP_1) | instskip(NEXT) | instid1(VALU_DEP_1)
	v_and_b32_e32 v1, 0x7f, v1
	v_add_nc_u16 v0, v1, v0
	s_delay_alu instid0(VALU_DEP_1) | instskip(NEXT) | instid1(VALU_DEP_1)
	v_lshrrev_b16 v133, 3, v0
	v_mul_lo_u16 v0, v133, 11
	s_delay_alu instid0(VALU_DEP_1) | instskip(NEXT) | instid1(VALU_DEP_1)
	v_sub_nc_u16 v0, v6, v0
	v_and_b32_e32 v132, 0xff, v0
	s_delay_alu instid0(VALU_DEP_1)
	v_lshlrev_b32_e32 v0, 6, v132
	s_clause 0x1
	global_load_b128 v[1:4], v0, s[10:11] offset:16
	global_load_b128 v[64:67], v0, s[10:11]
	s_waitcnt vmcnt(1) lgkmcnt(5)
	v_mul_f64 v[72:73], v[70:71], v[3:4]
	scratch_store_b128 off, v[1:4], off offset:268 ; 16-byte Folded Spill
	v_fma_f64 v[120:121], v[68:69], v[1:2], -v[72:73]
	v_mul_f64 v[68:69], v[68:69], v[3:4]
	s_delay_alu instid0(VALU_DEP_1) | instskip(SKIP_4) | instid1(VALU_DEP_1)
	v_fma_f64 v[122:123], v[70:71], v[1:2], v[68:69]
	s_clause 0x1
	global_load_b128 v[68:71], v0, s[10:11] offset:32
	global_load_b128 v[72:75], v0, s[10:11] offset:48
	v_add_nc_u16 v0, v6, 55
	v_and_b32_e32 v1, 0xff, v0
	s_delay_alu instid0(VALU_DEP_1) | instskip(NEXT) | instid1(VALU_DEP_1)
	v_mul_lo_u16 v1, 0x75, v1
	v_lshrrev_b16 v1, 8, v1
	s_delay_alu instid0(VALU_DEP_1) | instskip(NEXT) | instid1(VALU_DEP_1)
	v_sub_nc_u16 v2, v0, v1
	v_lshrrev_b16 v2, 1, v2
	s_delay_alu instid0(VALU_DEP_1) | instskip(NEXT) | instid1(VALU_DEP_1)
	v_and_b32_e32 v2, 0x7f, v2
	v_add_nc_u16 v1, v2, v1
	s_delay_alu instid0(VALU_DEP_1) | instskip(NEXT) | instid1(VALU_DEP_1)
	v_lshrrev_b16 v134, 3, v1
	v_mul_lo_u16 v1, v134, 11
	s_delay_alu instid0(VALU_DEP_1) | instskip(NEXT) | instid1(VALU_DEP_1)
	v_sub_nc_u16 v0, v0, v1
	v_and_b32_e32 v135, 0xff, v0
	s_delay_alu instid0(VALU_DEP_1) | instskip(SKIP_2) | instid1(VALU_DEP_1)
	v_lshlrev_b32_e32 v0, 6, v135
	s_waitcnt vmcnt(1) lgkmcnt(3)
	v_mul_f64 v[116:117], v[90:91], v[70:71]
	v_fma_f64 v[145:146], v[88:89], v[68:69], -v[116:117]
	v_mul_f64 v[88:89], v[88:89], v[70:71]
	s_delay_alu instid0(VALU_DEP_2) | instskip(NEXT) | instid1(VALU_DEP_2)
	v_add_f64 v[169:170], v[120:121], -v[145:146]
	v_fma_f64 v[150:151], v[90:91], v[68:69], v[88:89]
	v_mul_f64 v[88:89], v[78:79], v[66:67]
	s_delay_alu instid0(VALU_DEP_2) | instskip(NEXT) | instid1(VALU_DEP_2)
	v_add_f64 v[165:166], v[122:123], -v[150:151]
	v_fma_f64 v[154:155], v[76:77], v[64:65], -v[88:89]
	v_mul_f64 v[76:77], v[76:77], v[66:67]
	s_delay_alu instid0(VALU_DEP_2) | instskip(NEXT) | instid1(VALU_DEP_2)
	v_add_f64 v[171:172], v[120:121], -v[154:155]
	v_fma_f64 v[156:157], v[78:79], v[64:65], v[76:77]
	s_waitcnt vmcnt(0) lgkmcnt(1)
	v_mul_f64 v[76:77], v[82:83], v[74:75]
	s_delay_alu instid0(VALU_DEP_1) | instskip(SKIP_1) | instid1(VALU_DEP_2)
	v_fma_f64 v[158:159], v[80:81], v[72:73], -v[76:77]
	v_mul_f64 v[76:77], v[80:81], v[74:75]
	v_add_f64 v[167:168], v[154:155], -v[158:159]
	s_delay_alu instid0(VALU_DEP_2)
	v_fma_f64 v[161:162], v[82:83], v[72:73], v[76:77]
	s_clause 0x1
	global_load_b128 v[76:79], v0, s[10:11] offset:16
	global_load_b128 v[80:83], v0, s[10:11]
	v_add_f64 v[137:138], v[161:162], -v[150:151]
	v_add_f64 v[163:164], v[156:157], -v[161:162]
	s_waitcnt vmcnt(1)
	v_mul_f64 v[88:89], v[86:87], v[78:79]
	s_delay_alu instid0(VALU_DEP_1) | instskip(SKIP_1) | instid1(VALU_DEP_1)
	v_fma_f64 v[116:117], v[84:85], v[76:77], -v[88:89]
	v_mul_f64 v[84:85], v[84:85], v[78:79]
	v_fma_f64 v[118:119], v[86:87], v[76:77], v[84:85]
	s_clause 0x1
	global_load_b128 v[84:87], v0, s[10:11] offset:32
	global_load_b128 v[88:91], v0, s[10:11] offset:48
	v_add_nc_u16 v0, v6, 0x6e
	s_delay_alu instid0(VALU_DEP_1) | instskip(NEXT) | instid1(VALU_DEP_1)
	v_and_b32_e32 v1, 0xff, v0
	v_mul_lo_u16 v1, 0x75, v1
	s_delay_alu instid0(VALU_DEP_1) | instskip(NEXT) | instid1(VALU_DEP_1)
	v_lshrrev_b16 v1, 8, v1
	v_sub_nc_u16 v2, v0, v1
	s_delay_alu instid0(VALU_DEP_1) | instskip(NEXT) | instid1(VALU_DEP_1)
	v_lshrrev_b16 v2, 1, v2
	v_and_b32_e32 v2, 0x7f, v2
	s_delay_alu instid0(VALU_DEP_1) | instskip(NEXT) | instid1(VALU_DEP_1)
	v_add_nc_u16 v1, v2, v1
	v_lshrrev_b16 v1, 3, v1
	s_delay_alu instid0(VALU_DEP_1) | instskip(NEXT) | instid1(VALU_DEP_1)
	v_mul_lo_u16 v1, v1, 11
	v_sub_nc_u16 v136, v0, v1
	s_delay_alu instid0(VALU_DEP_1) | instskip(NEXT) | instid1(VALU_DEP_1)
	v_lshlrev_b16 v0, 2, v136
	v_and_b32_e32 v0, 0xfc, v0
	s_delay_alu instid0(VALU_DEP_1)
	v_lshlrev_b32_e32 v0, 4, v0
	s_clause 0x1
	global_load_b128 v[1:4], v0, s[10:11] offset:16
	global_load_b128 v[7:10], v0, s[10:11]
	s_waitcnt vmcnt(3)
	v_mul_f64 v[124:125], v[58:59], v[86:87]
	s_delay_alu instid0(VALU_DEP_1)
	v_fma_f64 v[177:178], v[56:57], v[84:85], -v[124:125]
	v_mul_f64 v[56:57], v[56:57], v[86:87]
	s_waitcnt vmcnt(1)
	scratch_store_b128 off, v[1:4], off offset:296 ; 16-byte Folded Spill
	v_fma_f64 v[179:180], v[58:59], v[84:85], v[56:57]
	v_mul_f64 v[56:57], v[46:47], v[82:83]
	s_delay_alu instid0(VALU_DEP_1) | instskip(SKIP_2) | instid1(VALU_DEP_2)
	v_fma_f64 v[181:182], v[44:45], v[80:81], -v[56:57]
	v_mul_f64 v[56:57], v[54:55], v[3:4]
	v_mul_f64 v[44:45], v[44:45], v[82:83]
	v_fma_f64 v[124:125], v[52:53], v[1:2], -v[56:57]
	v_mul_f64 v[52:53], v[52:53], v[3:4]
	s_delay_alu instid0(VALU_DEP_3) | instskip(SKIP_2) | instid1(VALU_DEP_3)
	v_fma_f64 v[183:184], v[46:47], v[80:81], v[44:45]
	s_waitcnt lgkmcnt(0)
	v_mul_f64 v[44:45], v[50:51], v[90:91]
	v_fma_f64 v[126:127], v[54:55], v[1:2], v[52:53]
	s_clause 0x1
	global_load_b128 v[1:4], v0, s[10:11] offset:32
	global_load_b128 v[11:14], v0, s[10:11] offset:48
	v_fma_f64 v[185:186], v[48:49], v[88:89], -v[44:45]
	v_mul_f64 v[44:45], v[48:49], v[90:91]
	s_delay_alu instid0(VALU_DEP_1)
	v_fma_f64 v[187:188], v[50:51], v[88:89], v[44:45]
	s_waitcnt vmcnt(1)
	v_mul_f64 v[128:129], v[110:111], v[3:4]
	scratch_store_b128 off, v[1:4], off offset:328 ; 16-byte Folded Spill
	v_fma_f64 v[128:129], v[108:109], v[1:2], -v[128:129]
	v_mul_f64 v[108:109], v[108:109], v[3:4]
	s_delay_alu instid0(VALU_DEP_1) | instskip(SKIP_1) | instid1(VALU_DEP_1)
	v_fma_f64 v[108:109], v[110:111], v[1:2], v[108:109]
	v_mul_f64 v[110:111], v[106:107], v[9:10]
	v_fma_f64 v[110:111], v[104:105], v[7:8], -v[110:111]
	v_mul_f64 v[104:105], v[104:105], v[9:10]
	s_delay_alu instid0(VALU_DEP_1) | instskip(SKIP_3) | instid1(VALU_DEP_2)
	v_fma_f64 v[130:131], v[106:107], v[7:8], v[104:105]
	s_waitcnt vmcnt(0)
	v_mul_f64 v[104:105], v[114:115], v[13:14]
	v_mul_f64 v[106:107], v[112:113], v[13:14]
	v_fma_f64 v[104:105], v[112:113], v[11:12], -v[104:105]
	s_delay_alu instid0(VALU_DEP_2) | instskip(SKIP_2) | instid1(VALU_DEP_1)
	v_fma_f64 v[106:107], v[114:115], v[11:12], v[106:107]
	v_add_f64 v[112:113], v[154:155], -v[120:121]
	v_add_f64 v[114:115], v[158:159], -v[145:146]
	v_add_f64 v[112:113], v[112:113], v[114:115]
	v_add_f64 v[114:115], v[156:157], -v[122:123]
	s_delay_alu instid0(VALU_DEP_1) | instskip(SKIP_1) | instid1(VALU_DEP_1)
	v_add_f64 v[114:115], v[114:115], v[137:138]
	v_add_f64 v[137:138], v[120:121], v[145:146]
	v_fma_f64 v[141:142], v[137:138], -0.5, v[100:101]
	v_add_f64 v[137:138], v[122:123], v[150:151]
	s_delay_alu instid0(VALU_DEP_1) | instskip(NEXT) | instid1(VALU_DEP_3)
	v_fma_f64 v[143:144], v[137:138], -0.5, v[102:103]
	v_fma_f64 v[137:138], v[163:164], s[12:13], v[141:142]
	v_fma_f64 v[141:142], v[163:164], s[14:15], v[141:142]
	s_delay_alu instid0(VALU_DEP_3) | instskip(SKIP_1) | instid1(VALU_DEP_4)
	v_fma_f64 v[139:140], v[167:168], s[14:15], v[143:144]
	v_fma_f64 v[143:144], v[167:168], s[12:13], v[143:144]
	v_fma_f64 v[137:138], v[165:166], s[0:1], v[137:138]
	s_delay_alu instid0(VALU_DEP_4) | instskip(NEXT) | instid1(VALU_DEP_4)
	v_fma_f64 v[141:142], v[165:166], s[8:9], v[141:142]
	v_fma_f64 v[139:140], v[169:170], s[8:9], v[139:140]
	s_delay_alu instid0(VALU_DEP_4) | instskip(NEXT) | instid1(VALU_DEP_4)
	v_fma_f64 v[143:144], v[169:170], s[0:1], v[143:144]
	v_fma_f64 v[137:138], v[112:113], s[16:17], v[137:138]
	s_delay_alu instid0(VALU_DEP_4) | instskip(SKIP_4) | instid1(VALU_DEP_4)
	v_fma_f64 v[141:142], v[112:113], s[16:17], v[141:142]
	v_add_f64 v[112:113], v[154:155], v[158:159]
	v_fma_f64 v[139:140], v[114:115], s[16:17], v[139:140]
	v_fma_f64 v[143:144], v[114:115], s[16:17], v[143:144]
	v_add_f64 v[114:115], v[156:157], v[161:162]
	v_fma_f64 v[112:113], v[112:113], -0.5, v[100:101]
	v_add_f64 v[100:101], v[100:101], v[154:155]
	s_delay_alu instid0(VALU_DEP_3) | instskip(SKIP_1) | instid1(VALU_DEP_3)
	v_fma_f64 v[114:115], v[114:115], -0.5, v[102:103]
	v_add_f64 v[102:103], v[102:103], v[156:157]
	v_add_f64 v[100:101], v[100:101], v[120:121]
	v_add_f64 v[120:121], v[122:123], -v[156:157]
	s_delay_alu instid0(VALU_DEP_3) | instskip(SKIP_1) | instid1(VALU_DEP_4)
	v_add_f64 v[102:103], v[102:103], v[122:123]
	v_add_f64 v[122:123], v[145:146], -v[158:159]
	v_add_f64 v[100:101], v[100:101], v[145:146]
	v_fma_f64 v[145:146], v[169:170], s[12:13], v[114:115]
	v_fma_f64 v[114:115], v[169:170], s[14:15], v[114:115]
	v_add_f64 v[102:103], v[102:103], v[150:151]
	v_add_f64 v[122:123], v[171:172], v[122:123]
	;; [unrolled: 1-line block ×3, first 2 shown]
	v_add_f64 v[100:101], v[150:151], -v[161:162]
	v_fma_f64 v[114:115], v[167:168], s[0:1], v[114:115]
	v_add_f64 v[150:151], v[181:182], -v[185:186]
	v_add_f64 v[158:159], v[116:117], -v[177:178]
	v_add_f64 v[156:157], v[102:103], v[161:162]
	v_fma_f64 v[102:103], v[165:166], s[14:15], v[112:113]
	v_fma_f64 v[112:113], v[165:166], s[12:13], v[112:113]
	v_add_f64 v[100:101], v[120:121], v[100:101]
	v_fma_f64 v[120:121], v[167:168], s[8:9], v[145:146]
	s_delay_alu instid0(VALU_DEP_4) | instskip(NEXT) | instid1(VALU_DEP_4)
	v_fma_f64 v[102:103], v[163:164], s[0:1], v[102:103]
	v_fma_f64 v[112:113], v[163:164], s[8:9], v[112:113]
	s_delay_alu instid0(VALU_DEP_4) | instskip(NEXT) | instid1(VALU_DEP_4)
	v_fma_f64 v[167:168], v[100:101], s[16:17], v[114:115]
	v_fma_f64 v[163:164], v[100:101], s[16:17], v[120:121]
	v_add_f64 v[100:101], v[181:182], -v[116:117]
	v_add_f64 v[114:115], v[118:119], v[179:180]
	v_add_f64 v[120:121], v[183:184], -v[187:188]
	v_fma_f64 v[161:162], v[122:123], s[16:17], v[102:103]
	v_add_f64 v[102:103], v[185:186], -v[177:178]
	v_fma_f64 v[165:166], v[122:123], s[16:17], v[112:113]
	v_add_f64 v[112:113], v[187:188], -v[179:180]
	v_add_f64 v[122:123], v[118:119], -v[179:180]
	v_fma_f64 v[114:115], v[114:115], -0.5, v[98:99]
	v_add_f64 v[100:101], v[100:101], v[102:103]
	v_add_f64 v[102:103], v[183:184], -v[118:119]
	s_delay_alu instid0(VALU_DEP_3) | instskip(SKIP_1) | instid1(VALU_DEP_3)
	v_fma_f64 v[169:170], v[150:151], s[14:15], v[114:115]
	v_fma_f64 v[114:115], v[150:151], s[12:13], v[114:115]
	v_add_f64 v[102:103], v[102:103], v[112:113]
	v_add_f64 v[112:113], v[116:117], v[177:178]
	s_delay_alu instid0(VALU_DEP_4) | instskip(NEXT) | instid1(VALU_DEP_4)
	v_fma_f64 v[171:172], v[158:159], s[8:9], v[169:170]
	v_fma_f64 v[114:115], v[158:159], s[0:1], v[114:115]
	s_delay_alu instid0(VALU_DEP_3) | instskip(NEXT) | instid1(VALU_DEP_3)
	v_fma_f64 v[112:113], v[112:113], -0.5, v[96:97]
	v_fma_f64 v[171:172], v[102:103], s[16:17], v[171:172]
	s_delay_alu instid0(VALU_DEP_3) | instskip(SKIP_4) | instid1(VALU_DEP_4)
	v_fma_f64 v[175:176], v[102:103], s[16:17], v[114:115]
	v_add_f64 v[102:103], v[183:184], v[187:188]
	v_add_f64 v[114:115], v[118:119], -v[183:184]
	v_fma_f64 v[145:146], v[120:121], s[12:13], v[112:113]
	v_fma_f64 v[112:113], v[120:121], s[14:15], v[112:113]
	v_fma_f64 v[102:103], v[102:103], -0.5, v[98:99]
	v_add_f64 v[98:99], v[98:99], v[183:184]
	s_delay_alu instid0(VALU_DEP_4) | instskip(NEXT) | instid1(VALU_DEP_4)
	v_fma_f64 v[145:146], v[122:123], s[0:1], v[145:146]
	v_fma_f64 v[112:113], v[122:123], s[8:9], v[112:113]
	s_delay_alu instid0(VALU_DEP_3) | instskip(SKIP_1) | instid1(VALU_DEP_4)
	v_add_f64 v[98:99], v[98:99], v[118:119]
	v_add_f64 v[118:119], v[179:180], -v[187:188]
	v_fma_f64 v[169:170], v[100:101], s[16:17], v[145:146]
	s_delay_alu instid0(VALU_DEP_4) | instskip(SKIP_4) | instid1(VALU_DEP_4)
	v_fma_f64 v[173:174], v[100:101], s[16:17], v[112:113]
	v_add_f64 v[100:101], v[181:182], v[185:186]
	v_add_f64 v[112:113], v[116:117], -v[181:182]
	v_add_f64 v[98:99], v[98:99], v[179:180]
	v_add_f64 v[114:115], v[114:115], v[118:119]
	v_fma_f64 v[100:101], v[100:101], -0.5, v[96:97]
	v_add_f64 v[96:97], v[96:97], v[181:182]
	s_delay_alu instid0(VALU_DEP_4) | instskip(SKIP_1) | instid1(VALU_DEP_4)
	v_add_f64 v[98:99], v[98:99], v[187:188]
	v_add_f64 v[187:188], v[108:109], -v[106:107]
	v_fma_f64 v[145:146], v[122:123], s[14:15], v[100:101]
	s_delay_alu instid0(VALU_DEP_4)
	v_add_f64 v[96:97], v[96:97], v[116:117]
	v_add_f64 v[116:117], v[177:178], -v[185:186]
	v_fma_f64 v[100:101], v[122:123], s[12:13], v[100:101]
	v_fma_f64 v[122:123], v[158:159], s[12:13], v[102:103]
	;; [unrolled: 1-line block ×3, first 2 shown]
	v_add_f64 v[96:97], v[96:97], v[177:178]
	v_add_f64 v[112:113], v[112:113], v[116:117]
	v_fma_f64 v[100:101], v[120:121], s[8:9], v[100:101]
	v_fma_f64 v[116:117], v[120:121], s[0:1], v[145:146]
	;; [unrolled: 1-line block ×4, first 2 shown]
	v_add_f64 v[120:121], v[130:131], -v[106:107]
	v_add_f64 v[145:146], v[110:111], -v[104:105]
	;; [unrolled: 1-line block ×4, first 2 shown]
	v_add_f64 v[96:97], v[96:97], v[185:186]
	v_fma_f64 v[181:182], v[112:113], s[16:17], v[100:101]
	v_add_f64 v[100:101], v[110:111], -v[124:125]
	v_fma_f64 v[183:184], v[114:115], s[16:17], v[102:103]
	v_add_f64 v[102:103], v[104:105], -v[128:129]
	v_fma_f64 v[177:178], v[112:113], s[16:17], v[116:117]
	v_fma_f64 v[179:180], v[114:115], s[16:17], v[118:119]
	s_delay_alu instid0(VALU_DEP_3) | instskip(SKIP_2) | instid1(VALU_DEP_1)
	v_add_f64 v[112:113], v[100:101], v[102:103]
	v_add_f64 v[100:101], v[130:131], -v[126:127]
	v_add_f64 v[102:103], v[106:107], -v[108:109]
	v_add_f64 v[114:115], v[100:101], v[102:103]
	v_add_f64 v[100:101], v[124:125], v[128:129]
	s_delay_alu instid0(VALU_DEP_1) | instskip(SKIP_1) | instid1(VALU_DEP_1)
	v_fma_f64 v[116:117], v[100:101], -0.5, v[92:93]
	v_add_f64 v[100:101], v[126:127], v[108:109]
	v_fma_f64 v[118:119], v[100:101], -0.5, v[94:95]
	s_delay_alu instid0(VALU_DEP_3) | instskip(SKIP_1) | instid1(VALU_DEP_3)
	v_fma_f64 v[100:101], v[120:121], s[12:13], v[116:117]
	v_fma_f64 v[116:117], v[120:121], s[14:15], v[116:117]
	;; [unrolled: 1-line block ×3, first 2 shown]
	s_delay_alu instid0(VALU_DEP_3) | instskip(SKIP_1) | instid1(VALU_DEP_4)
	v_fma_f64 v[100:101], v[122:123], s[0:1], v[100:101]
	v_fma_f64 v[118:119], v[145:146], s[12:13], v[118:119]
	;; [unrolled: 1-line block ×3, first 2 shown]
	s_delay_alu instid0(VALU_DEP_4) | instskip(NEXT) | instid1(VALU_DEP_4)
	v_fma_f64 v[102:103], v[150:151], s[8:9], v[102:103]
	v_fma_f64 v[0:1], v[112:113], s[16:17], v[100:101]
	s_delay_alu instid0(VALU_DEP_4) | instskip(NEXT) | instid1(VALU_DEP_3)
	v_fma_f64 v[118:119], v[150:151], s[0:1], v[118:119]
	v_fma_f64 v[2:3], v[114:115], s[16:17], v[102:103]
	s_clause 0x1
	scratch_store_b128 off, v[7:10], off offset:312
	scratch_store_b128 off, v[0:3], off
	v_fma_f64 v[0:1], v[112:113], s[16:17], v[116:117]
	v_fma_f64 v[2:3], v[114:115], s[16:17], v[118:119]
	v_add_f64 v[116:117], v[124:125], -v[110:111]
	v_add_f64 v[118:119], v[128:129], -v[104:105]
	s_clause 0x1
	scratch_store_b128 off, v[11:14], off offset:344
	scratch_store_b128 off, v[0:3], off offset:16
	v_add_f64 v[158:159], v[116:117], v[118:119]
	v_add_f64 v[116:117], v[110:111], v[104:105]
	s_delay_alu instid0(VALU_DEP_1) | instskip(NEXT) | instid1(VALU_DEP_1)
	v_fma_f64 v[116:117], v[116:117], -0.5, v[92:93]
	v_fma_f64 v[118:119], v[122:123], s[14:15], v[116:117]
	v_fma_f64 v[116:117], v[122:123], s[12:13], v[116:117]
	v_add_f64 v[122:123], v[130:131], v[106:107]
	s_delay_alu instid0(VALU_DEP_3) | instskip(NEXT) | instid1(VALU_DEP_3)
	v_fma_f64 v[118:119], v[120:121], s[0:1], v[118:119]
	v_fma_f64 v[120:121], v[120:121], s[8:9], v[116:117]
	s_delay_alu instid0(VALU_DEP_3) | instskip(NEXT) | instid1(VALU_DEP_3)
	v_fma_f64 v[122:123], v[122:123], -0.5, v[94:95]
	v_fma_f64 v[0:1], v[158:159], s[16:17], v[118:119]
	s_delay_alu instid0(VALU_DEP_2) | instskip(SKIP_2) | instid1(VALU_DEP_3)
	v_fma_f64 v[185:186], v[150:151], s[12:13], v[122:123]
	v_fma_f64 v[122:123], v[150:151], s[14:15], v[122:123]
	v_add_f64 v[150:151], v[126:127], -v[130:131]
	v_fma_f64 v[185:186], v[145:146], s[8:9], v[185:186]
	s_delay_alu instid0(VALU_DEP_3) | instskip(NEXT) | instid1(VALU_DEP_3)
	v_fma_f64 v[122:123], v[145:146], s[0:1], v[122:123]
	v_add_f64 v[150:151], v[150:151], v[187:188]
	s_delay_alu instid0(VALU_DEP_1)
	v_fma_f64 v[2:3], v[150:151], s[16:17], v[185:186]
	scratch_store_b128 off, v[0:3], off offset:32 ; 16-byte Folded Spill
	v_fma_f64 v[0:1], v[158:159], s[16:17], v[120:121]
	v_fma_f64 v[2:3], v[150:151], s[16:17], v[122:123]
	scratch_store_b128 off, v[0:3], off offset:48 ; 16-byte Folded Spill
	v_and_b32_e32 v0, 0xffff, v133
	s_waitcnt_vscnt null, 0x0
	s_barrier
	buffer_gl0_inv
	v_mul_u32_u24_e32 v0, 55, v0
	s_delay_alu instid0(VALU_DEP_1)
	v_add_lshl_u32 v0, v0, v132, 4
	ds_store_b128 v0, v[154:157]
	ds_store_b128 v0, v[137:140] offset:176
	ds_store_b128 v0, v[161:164] offset:352
	;; [unrolled: 1-line block ×3, first 2 shown]
	scratch_store_b32 off, v0, off offset:292 ; 4-byte Folded Spill
	ds_store_b128 v0, v[141:144] offset:704
	v_and_b32_e32 v0, 0xffff, v134
	s_delay_alu instid0(VALU_DEP_1) | instskip(NEXT) | instid1(VALU_DEP_1)
	v_mul_u32_u24_e32 v0, 55, v0
	v_add_lshl_u32 v0, v0, v135, 4
	ds_store_b128 v0, v[96:99]
	ds_store_b128 v0, v[169:172] offset:176
	ds_store_b128 v0, v[177:180] offset:352
	;; [unrolled: 1-line block ×3, first 2 shown]
	scratch_store_b32 off, v0, off offset:288 ; 4-byte Folded Spill
	ds_store_b128 v0, v[173:176] offset:704
	v_and_b32_e32 v0, 0xff, v136
	scratch_store_b32 off, v0, off offset:284 ; 4-byte Folded Spill
	s_and_saveexec_b32 s0, vcc_lo
	s_cbranch_execz .LBB0_5
; %bb.4:
	s_clause 0x1
	scratch_load_b32 v0, off, off offset:284
	scratch_load_b128 v[1:4], off, off offset:32
	v_add_f64 v[94:95], v[94:95], v[130:131]
	v_add_f64 v[92:93], v[92:93], v[110:111]
	s_delay_alu instid0(VALU_DEP_2) | instskip(NEXT) | instid1(VALU_DEP_2)
	v_add_f64 v[94:95], v[94:95], v[126:127]
	v_add_f64 v[92:93], v[92:93], v[124:125]
	s_delay_alu instid0(VALU_DEP_2) | instskip(NEXT) | instid1(VALU_DEP_2)
	;; [unrolled: 3-line block ×3, first 2 shown]
	v_add_f64 v[94:95], v[94:95], v[106:107]
	v_add_f64 v[92:93], v[92:93], v[104:105]
	s_waitcnt vmcnt(1)
	v_lshlrev_b32_e32 v0, 4, v0
	s_waitcnt vmcnt(0)
	ds_store_b128 v0, v[1:4] offset:9152
	scratch_load_b128 v[1:4], off, off offset:48 ; 16-byte Folded Reload
	s_waitcnt vmcnt(0)
	ds_store_b128 v0, v[1:4] offset:9328
	ds_store_b128 v0, v[92:95] offset:8800
	scratch_load_b128 v[1:4], off, off      ; 16-byte Folded Reload
	s_waitcnt vmcnt(0)
	ds_store_b128 v0, v[1:4] offset:8976
	scratch_load_b128 v[1:4], off, off offset:16 ; 16-byte Folded Reload
	s_waitcnt vmcnt(0)
	ds_store_b128 v0, v[1:4] offset:9504
.LBB0_5:
	s_or_b32 exec_lo, exec_lo, s0
	v_mad_u64_u32 v[140:141], null, 0xa0, v6, s[10:11]
	scratch_store_b32 off, v6, off offset:144 ; 4-byte Folded Spill
	s_waitcnt lgkmcnt(0)
	s_waitcnt_vscnt null, 0x0
	s_barrier
	buffer_gl0_inv
	s_mov_b32 s26, 0xf8bb580b
	s_mov_b32 s14, 0x8eee2c13
	s_clause 0x3
	global_load_b128 v[96:99], v[140:141], off offset:704
	global_load_b128 v[92:95], v[140:141], off offset:848
	;; [unrolled: 1-line block ×4, first 2 shown]
	ds_load_b128 v[124:127], v193 offset:880
	ds_load_b128 v[154:157], v193
	ds_load_b128 v[128:131], v193 offset:8800
	s_mov_b32 s16, 0x43842ef
	s_mov_b32 s10, 0xbb3a28a1
	s_mov_b32 s8, 0xfd768dbf
	s_mov_b32 s27, 0xbfe14ced
	s_mov_b32 s15, 0xbfed1bb4
	s_mov_b32 s17, 0xbfefac9e
	s_mov_b32 s11, 0xbfe82f19
	s_mov_b32 s9, 0xbfd207e7
	s_mov_b32 s24, 0x8764f0ba
	s_mov_b32 s20, 0xd9c712b6
	s_mov_b32 s22, 0x640f44db
	s_mov_b32 s18, 0x7f775887
	s_mov_b32 s12, 0x9bcd5057
	s_mov_b32 s25, 0x3feaeb8c
	s_mov_b32 s21, 0x3fda9628
	s_mov_b32 s23, 0xbfc2375f
	s_mov_b32 s19, 0xbfe4f49e
	s_mov_b32 s13, 0xbfeeb42a
	s_mov_b32 s29, 0x3fd207e7
	s_mov_b32 s28, s8
	s_mov_b32 s30, s16
	s_mov_b32 s35, 0x3fe14ced
	s_mov_b32 s34, s26
	s_mov_b32 s37, 0x3fed1bb4
	s_mov_b32 s36, s14
	s_mov_b32 s1, 0x3fe82f19
	s_waitcnt vmcnt(3) lgkmcnt(2)
	v_mul_f64 v[132:133], v[126:127], v[98:99]
	v_mul_f64 v[134:135], v[124:125], v[98:99]
	s_waitcnt vmcnt(2) lgkmcnt(0)
	v_mul_f64 v[136:137], v[128:129], v[94:95]
	s_delay_alu instid0(VALU_DEP_3) | instskip(SKIP_1) | instid1(VALU_DEP_4)
	v_fma_f64 v[158:159], v[124:125], v[96:97], -v[132:133]
	v_mul_f64 v[124:125], v[130:131], v[94:95]
	v_fma_f64 v[169:170], v[126:127], v[96:97], v[134:135]
	s_delay_alu instid0(VALU_DEP_4) | instskip(NEXT) | instid1(VALU_DEP_3)
	v_fma_f64 v[150:151], v[130:131], v[92:93], v[136:137]
	v_fma_f64 v[189:190], v[128:129], v[92:93], -v[124:125]
	ds_load_b128 v[124:127], v193 offset:1760
	ds_load_b128 v[132:135], v193 offset:2640
	v_add_f64 v[202:203], v[169:170], v[150:151]
	v_add_f64 v[246:247], v[156:157], v[169:170]
	s_waitcnt vmcnt(1) lgkmcnt(1)
	v_mul_f64 v[128:129], v[126:127], v[106:107]
	v_add_f64 v[173:174], v[158:159], v[189:190]
	s_delay_alu instid0(VALU_DEP_2) | instskip(SKIP_1) | instid1(VALU_DEP_1)
	v_fma_f64 v[206:207], v[124:125], v[104:105], -v[128:129]
	v_mul_f64 v[124:125], v[124:125], v[106:107]
	v_fma_f64 v[208:209], v[126:127], v[104:105], v[124:125]
	ds_load_b128 v[124:127], v193 offset:7920
	ds_load_b128 v[142:145], v193 offset:7040
	s_waitcnt vmcnt(0) lgkmcnt(1)
	v_mul_f64 v[128:129], v[124:125], v[110:111]
	s_delay_alu instid0(VALU_DEP_1) | instskip(SKIP_1) | instid1(VALU_DEP_2)
	v_fma_f64 v[210:211], v[126:127], v[108:109], v[128:129]
	v_mul_f64 v[126:127], v[126:127], v[110:111]
	v_add_f64 v[0:1], v[208:209], v[210:211]
	s_delay_alu instid0(VALU_DEP_2)
	v_fma_f64 v[212:213], v[124:125], v[108:109], -v[126:127]
	s_clause 0x1
	global_load_b128 v[128:131], v[140:141], off offset:736
	global_load_b128 v[124:127], v[140:141], off offset:752
	v_add_f64 v[194:195], v[206:207], v[212:213]
	s_waitcnt vmcnt(1)
	v_mul_f64 v[136:137], v[134:135], v[130:131]
	s_delay_alu instid0(VALU_DEP_1) | instskip(SKIP_1) | instid1(VALU_DEP_1)
	v_fma_f64 v[214:215], v[132:133], v[128:129], -v[136:137]
	v_mul_f64 v[132:133], v[132:133], v[130:131]
	v_fma_f64 v[216:217], v[134:135], v[128:129], v[132:133]
	s_clause 0x1
	global_load_b128 v[136:139], v[140:141], off offset:816
	global_load_b128 v[132:135], v[140:141], off offset:800
	s_waitcnt vmcnt(1) lgkmcnt(0)
	v_mul_f64 v[146:147], v[142:143], v[138:139]
	s_delay_alu instid0(VALU_DEP_1) | instskip(SKIP_1) | instid1(VALU_DEP_2)
	v_fma_f64 v[218:219], v[144:145], v[136:137], v[146:147]
	v_mul_f64 v[144:145], v[144:145], v[138:139]
	v_add_f64 v[10:11], v[216:217], v[218:219]
	s_delay_alu instid0(VALU_DEP_2)
	v_fma_f64 v[220:221], v[142:143], v[136:137], -v[144:145]
	ds_load_b128 v[142:145], v193 offset:3520
	ds_load_b128 v[161:164], v193 offset:4400
	s_waitcnt lgkmcnt(1)
	v_mul_f64 v[146:147], v[144:145], v[126:127]
	v_add_f64 v[8:9], v[214:215], -v[220:221]
	v_add_f64 v[4:5], v[214:215], v[220:221]
	s_delay_alu instid0(VALU_DEP_3) | instskip(SKIP_1) | instid1(VALU_DEP_4)
	v_fma_f64 v[222:223], v[142:143], v[124:125], -v[146:147]
	v_mul_f64 v[142:143], v[142:143], v[126:127]
	v_mul_f64 v[12:13], v[8:9], s[16:17]
	;; [unrolled: 1-line block ×4, first 2 shown]
	s_delay_alu instid0(VALU_DEP_4)
	v_fma_f64 v[224:225], v[144:145], v[124:125], v[142:143]
	ds_load_b128 v[142:145], v193 offset:6160
	ds_load_b128 v[165:168], v193 offset:5280
	v_fma_f64 v[14:15], v[10:11], s[22:23], -v[12:13]
	v_fma_f64 v[54:55], v[10:11], s[24:25], v[52:53]
	s_waitcnt vmcnt(0) lgkmcnt(1)
	v_mul_f64 v[146:147], v[144:145], v[134:135]
	s_delay_alu instid0(VALU_DEP_1) | instskip(SKIP_1) | instid1(VALU_DEP_2)
	v_fma_f64 v[226:227], v[142:143], v[132:133], -v[146:147]
	v_mul_f64 v[142:143], v[142:143], v[134:135]
	v_add_f64 v[20:21], v[222:223], -v[226:227]
	s_delay_alu instid0(VALU_DEP_2)
	v_fma_f64 v[228:229], v[144:145], v[132:133], v[142:143]
	s_clause 0x1
	global_load_b128 v[144:147], v[140:141], off offset:768
	global_load_b128 v[140:143], v[140:141], off offset:784
	v_add_f64 v[18:19], v[222:223], v[226:227]
	v_mul_f64 v[24:25], v[20:21], s[10:11]
	v_add_f64 v[22:23], v[224:225], v[228:229]
	v_add_f64 v[16:17], v[224:225], -v[228:229]
	s_delay_alu instid0(VALU_DEP_2) | instskip(NEXT) | instid1(VALU_DEP_2)
	v_fma_f64 v[26:27], v[22:23], s[18:19], -v[24:25]
	v_mul_f64 v[148:149], v[16:17], s[10:11]
	v_mul_f64 v[100:101], v[16:17], s[30:31]
	;; [unrolled: 1-line block ×5, first 2 shown]
	s_delay_alu instid0(VALU_DEP_4) | instskip(NEXT) | instid1(VALU_DEP_4)
	v_fma_f64 v[102:103], v[18:19], s[22:23], -v[100:101]
	v_fma_f64 v[46:47], v[18:19], s[24:25], -v[44:45]
	s_delay_alu instid0(VALU_DEP_4) | instskip(SKIP_2) | instid1(VALU_DEP_1)
	v_fma_f64 v[58:59], v[18:19], s[12:13], -v[56:57]
	s_waitcnt vmcnt(1)
	v_mul_f64 v[171:172], v[163:164], v[146:147]
	v_fma_f64 v[230:231], v[161:162], v[144:145], -v[171:172]
	v_mul_f64 v[161:162], v[161:162], v[146:147]
	s_delay_alu instid0(VALU_DEP_1) | instskip(SKIP_2) | instid1(VALU_DEP_1)
	v_fma_f64 v[232:233], v[163:164], v[144:145], v[161:162]
	s_waitcnt vmcnt(0) lgkmcnt(0)
	v_mul_f64 v[161:162], v[167:168], v[142:143]
	v_fma_f64 v[234:235], v[165:166], v[140:141], -v[161:162]
	v_mul_f64 v[161:162], v[165:166], v[142:143]
	s_delay_alu instid0(VALU_DEP_2) | instskip(NEXT) | instid1(VALU_DEP_2)
	v_add_f64 v[32:33], v[230:231], -v[234:235]
	v_fma_f64 v[236:237], v[167:168], v[140:141], v[161:162]
	v_add_f64 v[161:162], v[169:170], -v[150:151]
	v_add_f64 v[28:29], v[230:231], v[234:235]
	s_delay_alu instid0(VALU_DEP_4) | instskip(NEXT) | instid1(VALU_DEP_4)
	v_mul_f64 v[36:37], v[32:33], s[8:9]
	v_add_f64 v[34:35], v[232:233], v[236:237]
	s_delay_alu instid0(VALU_DEP_4)
	v_mul_f64 v[163:164], v[161:162], s[26:27]
	v_mul_f64 v[165:166], v[161:162], s[14:15]
	;; [unrolled: 1-line block ×5, first 2 shown]
	v_fma_f64 v[38:39], v[34:35], s[12:13], -v[36:37]
	v_fma_f64 v[175:176], v[173:174], s[24:25], -v[163:164]
	v_fma_f64 v[163:164], v[173:174], s[24:25], v[163:164]
	v_fma_f64 v[177:178], v[173:174], s[20:21], -v[165:166]
	v_fma_f64 v[165:166], v[173:174], s[20:21], v[165:166]
	;; [unrolled: 2-line block ×5, first 2 shown]
	v_add_f64 v[173:174], v[158:159], -v[189:190]
	v_add_f64 v[158:159], v[154:155], v[158:159]
	v_add_f64 v[163:164], v[154:155], v[163:164]
	;; [unrolled: 1-line block ×5, first 2 shown]
	v_mul_f64 v[185:186], v[173:174], s[26:27]
	v_mul_f64 v[187:188], v[173:174], s[14:15]
	;; [unrolled: 1-line block ×5, first 2 shown]
	v_fma_f64 v[244:245], v[202:203], s[24:25], -v[185:186]
	v_fma_f64 v[185:186], v[202:203], s[24:25], v[185:186]
	v_fma_f64 v[204:205], v[202:203], s[20:21], v[187:188]
	v_fma_f64 v[187:188], v[202:203], s[20:21], -v[187:188]
	v_fma_f64 v[238:239], v[202:203], s[22:23], v[198:199]
	v_fma_f64 v[198:199], v[202:203], s[22:23], -v[198:199]
	;; [unrolled: 2-line block ×4, first 2 shown]
	v_add_f64 v[202:203], v[154:155], v[175:176]
	v_add_f64 v[175:176], v[154:155], v[177:178]
	;; [unrolled: 1-line block ×4, first 2 shown]
	v_add_f64 v[185:186], v[206:207], -v[212:213]
	v_add_f64 v[177:178], v[156:157], v[204:205]
	v_add_f64 v[204:205], v[154:155], v[165:166]
	;; [unrolled: 1-line block ×10, first 2 shown]
	v_add_f64 v[173:174], v[208:209], -v[210:211]
	v_add_f64 v[187:188], v[216:217], -v[218:219]
	v_add_f64 v[238:239], v[154:155], v[167:168]
	v_add_f64 v[244:245], v[154:155], v[171:172]
	v_mul_f64 v[2:3], v[185:186], s[14:15]
	v_mul_f64 v[40:41], v[185:186], s[10:11]
	;; [unrolled: 1-line block ×7, first 2 shown]
	v_fma_f64 v[156:157], v[0:1], s[20:21], -v[2:3]
	v_fma_f64 v[42:43], v[0:1], s[18:19], v[40:41]
	v_fma_f64 v[118:119], v[0:1], s[12:13], v[116:117]
	;; [unrolled: 1-line block ×4, first 2 shown]
	v_fma_f64 v[122:123], v[4:5], s[20:21], -v[120:121]
	v_add_f64 v[156:157], v[156:157], v[169:170]
	v_add_f64 v[42:43], v[42:43], v[177:178]
	;; [unrolled: 1-line block ×3, first 2 shown]
	v_mul_f64 v[177:178], v[185:186], s[34:35]
	v_mul_f64 v[179:180], v[187:188], s[10:11]
	v_add_f64 v[154:155], v[154:155], v[163:164]
	v_add_f64 v[14:15], v[14:15], v[156:157]
	v_fma_f64 v[156:157], v[18:19], s[18:19], v[148:149]
	s_delay_alu instid0(VALU_DEP_3) | instskip(SKIP_1) | instid1(VALU_DEP_4)
	v_add_f64 v[154:155], v[161:162], v[154:155]
	v_fma_f64 v[161:162], v[4:5], s[12:13], -v[152:153]
	v_add_f64 v[14:15], v[26:27], v[14:15]
	v_add_f64 v[26:27], v[232:233], -v[236:237]
	s_delay_alu instid0(VALU_DEP_4) | instskip(NEXT) | instid1(VALU_DEP_2)
	v_add_f64 v[154:155], v[156:157], v[154:155]
	v_mul_f64 v[30:31], v[26:27], s[8:9]
	v_mul_f64 v[112:113], v[26:27], s[34:35]
	;; [unrolled: 1-line block ×5, first 2 shown]
	v_fma_f64 v[156:157], v[28:29], s[12:13], v[30:31]
	v_fma_f64 v[114:115], v[28:29], s[24:25], -v[112:113]
	v_fma_f64 v[50:51], v[28:29], s[18:19], -v[48:49]
	;; [unrolled: 1-line block ×3, first 2 shown]
	s_delay_alu instid0(VALU_DEP_4) | instskip(SKIP_2) | instid1(VALU_DEP_1)
	v_add_f64 v[154:155], v[156:157], v[154:155]
	v_add_f64 v[156:157], v[38:39], v[14:15]
	v_mul_f64 v[14:15], v[173:174], s[10:11]
	v_fma_f64 v[38:39], v[194:195], s[18:19], -v[14:15]
	s_delay_alu instid0(VALU_DEP_1) | instskip(SKIP_1) | instid1(VALU_DEP_2)
	v_add_f64 v[38:39], v[38:39], v[175:176]
	v_fma_f64 v[175:176], v[4:5], s[18:19], -v[179:180]
	v_add_f64 v[38:39], v[161:162], v[38:39]
	v_fma_f64 v[161:162], v[10:11], s[12:13], v[196:197]
	s_delay_alu instid0(VALU_DEP_2) | instskip(SKIP_1) | instid1(VALU_DEP_3)
	v_add_f64 v[38:39], v[102:103], v[38:39]
	v_mul_f64 v[102:103], v[20:21], s[30:31]
	v_add_f64 v[42:43], v[161:162], v[42:43]
	s_delay_alu instid0(VALU_DEP_2) | instskip(NEXT) | instid1(VALU_DEP_1)
	v_fma_f64 v[161:162], v[22:23], s[22:23], v[102:103]
	v_add_f64 v[42:43], v[161:162], v[42:43]
	v_add_f64 v[161:162], v[114:115], v[38:39]
	v_mul_f64 v[38:39], v[32:33], s[34:35]
	s_delay_alu instid0(VALU_DEP_1) | instskip(NEXT) | instid1(VALU_DEP_1)
	v_fma_f64 v[114:115], v[34:35], s[24:25], v[38:39]
	v_add_f64 v[163:164], v[114:115], v[42:43]
	v_mul_f64 v[42:43], v[173:174], s[28:29]
	s_delay_alu instid0(VALU_DEP_1) | instskip(NEXT) | instid1(VALU_DEP_1)
	v_fma_f64 v[114:115], v[194:195], s[12:13], -v[42:43]
	v_add_f64 v[114:115], v[114:115], v[165:166]
	s_delay_alu instid0(VALU_DEP_1) | instskip(SKIP_2) | instid1(VALU_DEP_3)
	v_add_f64 v[114:115], v[122:123], v[114:115]
	v_mul_f64 v[122:123], v[8:9], s[36:37]
	v_mul_f64 v[8:9], v[8:9], s[10:11]
	v_add_f64 v[46:47], v[46:47], v[114:115]
	s_delay_alu instid0(VALU_DEP_3) | instskip(SKIP_1) | instid1(VALU_DEP_2)
	v_fma_f64 v[165:166], v[10:11], s[20:21], v[122:123]
	v_mul_f64 v[114:115], v[20:21], s[26:27]
	v_add_f64 v[118:119], v[165:166], v[118:119]
	s_delay_alu instid0(VALU_DEP_2) | instskip(NEXT) | instid1(VALU_DEP_1)
	v_fma_f64 v[165:166], v[22:23], s[24:25], v[114:115]
	v_add_f64 v[118:119], v[165:166], v[118:119]
	v_add_f64 v[165:166], v[50:51], v[46:47]
	v_mul_f64 v[46:47], v[32:33], s[10:11]
	s_delay_alu instid0(VALU_DEP_1) | instskip(NEXT) | instid1(VALU_DEP_1)
	v_fma_f64 v[50:51], v[34:35], s[18:19], v[46:47]
	v_add_f64 v[167:168], v[50:51], v[118:119]
	v_mul_f64 v[50:51], v[173:174], s[30:31]
	s_delay_alu instid0(VALU_DEP_1) | instskip(NEXT) | instid1(VALU_DEP_1)
	v_fma_f64 v[118:119], v[194:195], s[22:23], -v[50:51]
	v_add_f64 v[118:119], v[118:119], v[181:182]
	v_mul_f64 v[181:182], v[185:186], s[30:31]
	s_delay_alu instid0(VALU_DEP_1) | instskip(NEXT) | instid1(VALU_DEP_1)
	v_fma_f64 v[169:170], v[0:1], s[22:23], v[181:182]
	v_add_f64 v[169:170], v[169:170], v[240:241]
	v_mul_f64 v[240:241], v[187:188], s[26:27]
	s_delay_alu instid0(VALU_DEP_2) | instskip(NEXT) | instid1(VALU_DEP_2)
	v_add_f64 v[54:55], v[54:55], v[169:170]
	v_fma_f64 v[171:172], v[4:5], s[24:25], -v[240:241]
	s_delay_alu instid0(VALU_DEP_1) | instskip(NEXT) | instid1(VALU_DEP_1)
	v_add_f64 v[118:119], v[171:172], v[118:119]
	v_add_f64 v[58:59], v[58:59], v[118:119]
	v_mul_f64 v[118:119], v[20:21], s[8:9]
	v_mul_f64 v[20:21], v[20:21], s[36:37]
	s_delay_alu instid0(VALU_DEP_2) | instskip(NEXT) | instid1(VALU_DEP_1)
	v_fma_f64 v[169:170], v[22:23], s[12:13], v[118:119]
	v_add_f64 v[54:55], v[169:170], v[54:55]
	v_add_f64 v[169:170], v[62:63], v[58:59]
	v_mul_f64 v[58:59], v[32:33], s[36:37]
	v_mul_f64 v[32:33], v[32:33], s[16:17]
	s_delay_alu instid0(VALU_DEP_2) | instskip(NEXT) | instid1(VALU_DEP_1)
	v_fma_f64 v[62:63], v[34:35], s[20:21], v[58:59]
	v_add_f64 v[171:172], v[62:63], v[54:55]
	v_mul_f64 v[54:55], v[173:174], s[34:35]
	v_fma_f64 v[173:174], v[0:1], s[24:25], v[177:178]
	s_delay_alu instid0(VALU_DEP_2) | instskip(NEXT) | instid1(VALU_DEP_2)
	v_fma_f64 v[62:63], v[194:195], s[24:25], -v[54:55]
	v_add_f64 v[173:174], v[173:174], v[242:243]
	v_fma_f64 v[54:55], v[194:195], s[24:25], v[54:55]
	s_delay_alu instid0(VALU_DEP_3) | instskip(NEXT) | instid1(VALU_DEP_2)
	v_add_f64 v[62:63], v[62:63], v[183:184]
	v_add_f64 v[54:55], v[54:55], v[248:249]
	s_delay_alu instid0(VALU_DEP_2) | instskip(SKIP_2) | instid1(VALU_DEP_2)
	v_add_f64 v[62:63], v[175:176], v[62:63]
	v_fma_f64 v[175:176], v[10:11], s[18:19], v[8:9]
	v_fma_f64 v[8:9], v[10:11], s[18:19], -v[8:9]
	v_add_f64 v[173:174], v[175:176], v[173:174]
	v_fma_f64 v[175:176], v[18:19], s[20:21], -v[16:17]
	v_fma_f64 v[16:17], v[18:19], s[20:21], v[16:17]
	s_delay_alu instid0(VALU_DEP_2) | instskip(SKIP_2) | instid1(VALU_DEP_2)
	v_add_f64 v[62:63], v[175:176], v[62:63]
	v_fma_f64 v[175:176], v[22:23], s[20:21], v[20:21]
	v_fma_f64 v[20:21], v[22:23], s[20:21], -v[20:21]
	v_add_f64 v[175:176], v[175:176], v[173:174]
	v_fma_f64 v[173:174], v[28:29], s[22:23], -v[26:27]
	s_delay_alu instid0(VALU_DEP_1) | instskip(SKIP_1) | instid1(VALU_DEP_1)
	v_add_f64 v[173:174], v[173:174], v[62:63]
	v_fma_f64 v[62:63], v[34:35], s[22:23], v[32:33]
	v_add_f64 v[175:176], v[62:63], v[175:176]
	v_fma_f64 v[62:63], v[0:1], s[24:25], -v[177:178]
	v_fma_f64 v[177:178], v[4:5], s[18:19], v[179:180]
	s_delay_alu instid0(VALU_DEP_2) | instskip(NEXT) | instid1(VALU_DEP_2)
	v_add_f64 v[62:63], v[62:63], v[250:251]
	v_add_f64 v[54:55], v[177:178], v[54:55]
	s_delay_alu instid0(VALU_DEP_2) | instskip(NEXT) | instid1(VALU_DEP_2)
	v_add_f64 v[8:9], v[8:9], v[62:63]
	v_add_f64 v[16:17], v[16:17], v[54:55]
	s_delay_alu instid0(VALU_DEP_2) | instskip(SKIP_2) | instid1(VALU_DEP_2)
	v_add_f64 v[8:9], v[20:21], v[8:9]
	v_fma_f64 v[20:21], v[28:29], s[22:23], v[26:27]
	v_fma_f64 v[26:27], v[34:35], s[22:23], -v[32:33]
	v_add_f64 v[177:178], v[20:21], v[16:17]
	s_delay_alu instid0(VALU_DEP_2) | instskip(SKIP_4) | instid1(VALU_DEP_4)
	v_add_f64 v[179:180], v[26:27], v[8:9]
	v_fma_f64 v[8:9], v[194:195], s[22:23], v[50:51]
	v_fma_f64 v[16:17], v[0:1], s[22:23], -v[181:182]
	v_fma_f64 v[20:21], v[4:5], s[24:25], v[240:241]
	v_fma_f64 v[26:27], v[34:35], s[20:21], -v[58:59]
	v_add_f64 v[8:9], v[8:9], v[244:245]
	s_delay_alu instid0(VALU_DEP_4) | instskip(NEXT) | instid1(VALU_DEP_2)
	v_add_f64 v[16:17], v[16:17], v[200:201]
	v_add_f64 v[8:9], v[20:21], v[8:9]
	v_fma_f64 v[20:21], v[10:11], s[24:25], -v[52:53]
	s_delay_alu instid0(VALU_DEP_1) | instskip(SKIP_1) | instid1(VALU_DEP_1)
	v_add_f64 v[16:17], v[20:21], v[16:17]
	v_fma_f64 v[20:21], v[18:19], s[12:13], v[56:57]
	v_add_f64 v[8:9], v[20:21], v[8:9]
	v_fma_f64 v[20:21], v[22:23], s[12:13], -v[118:119]
	s_delay_alu instid0(VALU_DEP_1) | instskip(SKIP_1) | instid1(VALU_DEP_2)
	v_add_f64 v[16:17], v[20:21], v[16:17]
	v_fma_f64 v[20:21], v[28:29], s[20:21], v[60:61]
	v_add_f64 v[183:184], v[26:27], v[16:17]
	s_delay_alu instid0(VALU_DEP_2) | instskip(SKIP_4) | instid1(VALU_DEP_4)
	v_add_f64 v[181:182], v[20:21], v[8:9]
	v_fma_f64 v[8:9], v[194:195], s[12:13], v[42:43]
	v_fma_f64 v[16:17], v[0:1], s[12:13], -v[116:117]
	v_fma_f64 v[20:21], v[4:5], s[20:21], v[120:121]
	v_fma_f64 v[26:27], v[34:35], s[18:19], -v[46:47]
	v_add_f64 v[8:9], v[8:9], v[238:239]
	s_delay_alu instid0(VALU_DEP_4) | instskip(NEXT) | instid1(VALU_DEP_2)
	v_add_f64 v[16:17], v[16:17], v[198:199]
	v_add_f64 v[8:9], v[20:21], v[8:9]
	v_fma_f64 v[20:21], v[10:11], s[20:21], -v[122:123]
	s_delay_alu instid0(VALU_DEP_1) | instskip(SKIP_1) | instid1(VALU_DEP_1)
	v_add_f64 v[16:17], v[20:21], v[16:17]
	v_fma_f64 v[20:21], v[18:19], s[24:25], v[44:45]
	v_add_f64 v[8:9], v[20:21], v[8:9]
	v_fma_f64 v[20:21], v[22:23], s[24:25], -v[114:115]
	s_delay_alu instid0(VALU_DEP_1) | instskip(SKIP_1) | instid1(VALU_DEP_2)
	v_add_f64 v[16:17], v[20:21], v[16:17]
	v_fma_f64 v[20:21], v[28:29], s[18:19], v[48:49]
	v_add_f64 v[187:188], v[26:27], v[16:17]
	s_delay_alu instid0(VALU_DEP_2)
	v_add_f64 v[185:186], v[20:21], v[8:9]
	v_fma_f64 v[8:9], v[194:195], s[18:19], v[14:15]
	v_fma_f64 v[14:15], v[0:1], s[18:19], -v[40:41]
	v_fma_f64 v[16:17], v[4:5], s[12:13], v[152:153]
	v_fma_f64 v[0:1], v[0:1], s[20:21], v[2:3]
	v_fma_f64 v[2:3], v[4:5], s[22:23], -v[6:7]
	v_fma_f64 v[4:5], v[10:11], s[22:23], v[12:13]
	v_fma_f64 v[20:21], v[34:35], s[24:25], -v[38:39]
	v_add_f64 v[8:9], v[8:9], v[204:205]
	v_add_f64 v[14:15], v[14:15], v[252:253]
	;; [unrolled: 1-line block ×3, first 2 shown]
	s_delay_alu instid0(VALU_DEP_3) | instskip(SKIP_2) | instid1(VALU_DEP_4)
	v_add_f64 v[8:9], v[16:17], v[8:9]
	v_fma_f64 v[16:17], v[10:11], s[12:13], -v[196:197]
	v_fma_f64 v[10:11], v[22:23], s[18:19], v[24:25]
	v_add_f64 v[0:1], v[4:5], v[0:1]
	v_fma_f64 v[4:5], v[28:29], s[12:13], -v[30:31]
	s_delay_alu instid0(VALU_DEP_4) | instskip(SKIP_1) | instid1(VALU_DEP_4)
	v_add_f64 v[14:15], v[16:17], v[14:15]
	v_fma_f64 v[16:17], v[18:19], s[22:23], v[100:101]
	v_add_f64 v[0:1], v[10:11], v[0:1]
	s_delay_alu instid0(VALU_DEP_2) | instskip(SKIP_1) | instid1(VALU_DEP_1)
	v_add_f64 v[8:9], v[16:17], v[8:9]
	v_fma_f64 v[16:17], v[22:23], s[22:23], -v[102:103]
	v_add_f64 v[14:15], v[16:17], v[14:15]
	v_fma_f64 v[16:17], v[28:29], s[24:25], v[112:113]
	s_delay_alu instid0(VALU_DEP_2) | instskip(NEXT) | instid1(VALU_DEP_2)
	v_add_f64 v[200:201], v[20:21], v[14:15]
	v_add_f64 v[198:199], v[16:17], v[8:9]
	v_fma_f64 v[8:9], v[194:195], s[20:21], -v[191:192]
	s_delay_alu instid0(VALU_DEP_1) | instskip(SKIP_1) | instid1(VALU_DEP_2)
	v_add_f64 v[6:7], v[8:9], v[202:203]
	v_fma_f64 v[8:9], v[18:19], s[18:19], -v[148:149]
	v_add_f64 v[2:3], v[2:3], v[6:7]
	v_fma_f64 v[6:7], v[34:35], s[12:13], v[36:37]
	s_delay_alu instid0(VALU_DEP_2) | instskip(NEXT) | instid1(VALU_DEP_2)
	v_add_f64 v[2:3], v[8:9], v[2:3]
	v_add_f64 v[204:205], v[6:7], v[0:1]
	;; [unrolled: 1-line block ×3, first 2 shown]
	s_delay_alu instid0(VALU_DEP_3) | instskip(SKIP_1) | instid1(VALU_DEP_3)
	v_add_f64 v[202:203], v[4:5], v[2:3]
	v_add_f64 v[2:3], v[246:247], v[208:209]
	;; [unrolled: 1-line block ×3, first 2 shown]
	s_delay_alu instid0(VALU_DEP_2) | instskip(NEXT) | instid1(VALU_DEP_2)
	v_add_f64 v[2:3], v[2:3], v[216:217]
	v_add_f64 v[0:1], v[0:1], v[222:223]
	s_delay_alu instid0(VALU_DEP_2) | instskip(NEXT) | instid1(VALU_DEP_2)
	v_add_f64 v[2:3], v[2:3], v[224:225]
	v_add_f64 v[0:1], v[0:1], v[230:231]
	;; [unrolled: 3-line block ×7, first 2 shown]
	s_delay_alu instid0(VALU_DEP_2)
	v_add_f64 v[208:209], v[2:3], v[150:151]
	ds_store_b128 v193, v[161:164] offset:1760
	ds_store_b128 v193, v[165:168] offset:2640
	;; [unrolled: 1-line block ×10, first 2 shown]
	ds_store_b128 v193, v[206:209]
	s_clause 0x1
	scratch_load_b32 v6, off, off offset:252
	scratch_load_b32 v7, off, off offset:256
	s_waitcnt vmcnt(0) lgkmcnt(0)
	s_barrier
	buffer_gl0_inv
	scratch_load_b64 v[2:3], off, off offset:260 ; 8-byte Folded Reload
	v_add_co_u32 v0, s0, 0x25d0, v6
	s_delay_alu instid0(VALU_DEP_1)
	v_add_co_ci_u32_e64 v1, s0, 0, v7, s0
	s_waitcnt vmcnt(0)
	s_clause 0x1
	global_load_b128 v[148:151], v[2:3], off offset:1488
	global_load_b128 v[154:157], v[0:1], off offset:880
	ds_load_b128 v[161:164], v193
	ds_load_b128 v[165:168], v193 offset:880
	s_waitcnt vmcnt(1) lgkmcnt(1)
	v_mul_f64 v[2:3], v[163:164], v[150:151]
	v_mul_f64 v[4:5], v[161:162], v[150:151]
	s_delay_alu instid0(VALU_DEP_2) | instskip(NEXT) | instid1(VALU_DEP_2)
	v_fma_f64 v[161:162], v[161:162], v[148:149], -v[2:3]
	v_fma_f64 v[163:164], v[163:164], v[148:149], v[4:5]
	s_waitcnt vmcnt(0) lgkmcnt(0)
	v_mul_f64 v[2:3], v[167:168], v[156:157]
	v_mul_f64 v[4:5], v[165:166], v[156:157]
	s_delay_alu instid0(VALU_DEP_2) | instskip(NEXT) | instid1(VALU_DEP_2)
	v_fma_f64 v[148:149], v[165:166], v[154:155], -v[2:3]
	v_fma_f64 v[150:151], v[167:168], v[154:155], v[4:5]
	s_clause 0x1
	global_load_b128 v[154:157], v[0:1], off offset:1760
	global_load_b128 v[165:168], v[0:1], off offset:2640
	ds_load_b128 v[169:172], v193 offset:1760
	ds_load_b128 v[173:176], v193 offset:2640
	s_waitcnt vmcnt(1) lgkmcnt(1)
	v_mul_f64 v[2:3], v[171:172], v[156:157]
	v_mul_f64 v[4:5], v[169:170], v[156:157]
	s_delay_alu instid0(VALU_DEP_2) | instskip(SKIP_2) | instid1(VALU_DEP_3)
	v_fma_f64 v[156:157], v[169:170], v[154:155], -v[2:3]
	s_waitcnt vmcnt(0) lgkmcnt(0)
	v_mul_f64 v[2:3], v[175:176], v[167:168]
	v_fma_f64 v[158:159], v[171:172], v[154:155], v[4:5]
	v_mul_f64 v[4:5], v[173:174], v[167:168]
	s_delay_alu instid0(VALU_DEP_3) | instskip(SKIP_1) | instid1(VALU_DEP_1)
	v_fma_f64 v[167:168], v[173:174], v[165:166], -v[2:3]
	v_add_co_u32 v2, s0, 0x3000, v6
	v_add_co_ci_u32_e64 v3, s0, 0, v7, s0
	s_delay_alu instid0(VALU_DEP_4)
	v_fma_f64 v[169:170], v[175:176], v[165:166], v[4:5]
	s_clause 0x1
	global_load_b128 v[171:174], v[0:1], off offset:3520
	global_load_b128 v[175:178], v[2:3], off offset:1792
	ds_load_b128 v[179:182], v193 offset:3520
	ds_load_b128 v[183:186], v193 offset:4400
	s_waitcnt vmcnt(1) lgkmcnt(1)
	v_mul_f64 v[0:1], v[181:182], v[173:174]
	v_mul_f64 v[4:5], v[179:180], v[173:174]
	s_delay_alu instid0(VALU_DEP_2) | instskip(NEXT) | instid1(VALU_DEP_2)
	v_fma_f64 v[179:180], v[179:180], v[171:172], -v[0:1]
	v_fma_f64 v[181:182], v[181:182], v[171:172], v[4:5]
	s_waitcnt vmcnt(0) lgkmcnt(0)
	v_mul_f64 v[0:1], v[185:186], v[177:178]
	v_mul_f64 v[4:5], v[183:184], v[177:178]
	s_delay_alu instid0(VALU_DEP_2) | instskip(NEXT) | instid1(VALU_DEP_2)
	v_fma_f64 v[171:172], v[183:184], v[175:176], -v[0:1]
	v_fma_f64 v[173:174], v[185:186], v[175:176], v[4:5]
	s_clause 0x1
	global_load_b128 v[175:178], v[2:3], off offset:2672
	global_load_b128 v[183:186], v[2:3], off offset:3552
	ds_load_b128 v[187:190], v193 offset:5280
	ds_load_b128 v[198:201], v193 offset:6160
	s_waitcnt vmcnt(1) lgkmcnt(1)
	v_mul_f64 v[0:1], v[189:190], v[177:178]
	v_mul_f64 v[2:3], v[187:188], v[177:178]
	s_delay_alu instid0(VALU_DEP_2) | instskip(SKIP_2) | instid1(VALU_DEP_3)
	v_fma_f64 v[187:188], v[187:188], v[175:176], -v[0:1]
	s_waitcnt vmcnt(0) lgkmcnt(0)
	v_mul_f64 v[0:1], v[200:201], v[185:186]
	v_fma_f64 v[189:190], v[189:190], v[175:176], v[2:3]
	v_mul_f64 v[2:3], v[198:199], v[185:186]
	s_delay_alu instid0(VALU_DEP_3) | instskip(SKIP_1) | instid1(VALU_DEP_1)
	v_fma_f64 v[175:176], v[198:199], v[183:184], -v[0:1]
	v_add_co_u32 v0, s0, 0x4000, v6
	v_add_co_ci_u32_e64 v1, s0, 0, v7, s0
	s_delay_alu instid0(VALU_DEP_4)
	v_fma_f64 v[177:178], v[200:201], v[183:184], v[2:3]
	s_clause 0x1
	global_load_b128 v[152:155], v[0:1], off offset:336
	global_load_b128 v[183:186], v[0:1], off offset:1216
	ds_load_b128 v[198:201], v193 offset:7040
	ds_load_b128 v[202:205], v193 offset:7920
	s_mov_b32 s0, s10
	s_waitcnt vmcnt(1) lgkmcnt(1)
	v_mul_f64 v[2:3], v[200:201], v[154:155]
	v_mul_f64 v[4:5], v[198:199], v[154:155]
	s_delay_alu instid0(VALU_DEP_2) | instskip(NEXT) | instid1(VALU_DEP_2)
	v_fma_f64 v[198:199], v[198:199], v[152:153], -v[2:3]
	v_fma_f64 v[200:201], v[200:201], v[152:153], v[4:5]
	s_waitcnt vmcnt(0) lgkmcnt(0)
	v_mul_f64 v[2:3], v[204:205], v[185:186]
	v_mul_f64 v[4:5], v[202:203], v[185:186]
	s_delay_alu instid0(VALU_DEP_2) | instskip(NEXT) | instid1(VALU_DEP_2)
	v_fma_f64 v[152:153], v[202:203], v[183:184], -v[2:3]
	v_fma_f64 v[154:155], v[204:205], v[183:184], v[4:5]
	global_load_b128 v[183:186], v[0:1], off offset:2096
	ds_load_b128 v[202:205], v193 offset:8800
	s_waitcnt vmcnt(0) lgkmcnt(0)
	v_mul_f64 v[0:1], v[204:205], v[185:186]
	v_mul_f64 v[2:3], v[202:203], v[185:186]
	s_delay_alu instid0(VALU_DEP_2) | instskip(NEXT) | instid1(VALU_DEP_2)
	v_fma_f64 v[202:203], v[202:203], v[183:184], -v[0:1]
	v_fma_f64 v[204:205], v[204:205], v[183:184], v[2:3]
	ds_store_b128 v193, v[161:164]
	ds_store_b128 v193, v[148:151] offset:880
	ds_store_b128 v193, v[156:159] offset:1760
	;; [unrolled: 1-line block ×10, first 2 shown]
	s_waitcnt lgkmcnt(0)
	s_barrier
	buffer_gl0_inv
	ds_load_b128 v[148:151], v193
	ds_load_b128 v[152:155], v193 offset:880
	ds_load_b128 v[156:159], v193 offset:1760
	;; [unrolled: 1-line block ×7, first 2 shown]
	s_waitcnt lgkmcnt(6)
	v_add_f64 v[0:1], v[148:149], v[152:153]
	v_add_f64 v[2:3], v[150:151], v[154:155]
	s_waitcnt lgkmcnt(1)
	v_add_f64 v[4:5], v[169:170], v[173:174]
	v_add_f64 v[6:7], v[171:172], v[175:176]
	v_add_f64 v[8:9], v[169:170], -v[173:174]
	v_add_f64 v[10:11], v[171:172], -v[175:176]
	s_waitcnt lgkmcnt(0)
	v_add_f64 v[12:13], v[165:166], v[177:178]
	v_add_f64 v[14:15], v[167:168], v[179:180]
	v_add_f64 v[16:17], v[167:168], -v[179:180]
	v_add_f64 v[18:19], v[165:166], -v[177:178]
	v_add_f64 v[0:1], v[0:1], v[156:157]
	v_add_f64 v[2:3], v[2:3], v[158:159]
	v_mul_f64 v[185:186], v[10:11], s[34:35]
	v_mul_f64 v[194:195], v[10:11], s[10:11]
	v_mul_f64 v[191:192], v[14:15], s[24:25]
	v_mul_f64 v[189:190], v[16:17], s[26:27]
	v_mul_f64 v[198:199], v[16:17], s[8:9]
	v_mul_f64 v[200:201], v[14:15], s[12:13]
	v_mul_f64 v[202:203], v[10:11], s[36:37]
	v_mul_f64 v[206:207], v[16:17], s[36:37]
	v_mul_f64 v[208:209], v[14:15], s[20:21]
	v_mul_f64 v[210:211], v[10:11], s[16:17]
	v_mul_f64 v[10:11], v[10:11], s[8:9]
	v_add_f64 v[0:1], v[0:1], v[161:162]
	v_add_f64 v[2:3], v[2:3], v[163:164]
	s_delay_alu instid0(VALU_DEP_2) | instskip(NEXT) | instid1(VALU_DEP_2)
	v_add_f64 v[0:1], v[0:1], v[165:166]
	v_add_f64 v[2:3], v[2:3], v[167:168]
	s_delay_alu instid0(VALU_DEP_2) | instskip(NEXT) | instid1(VALU_DEP_2)
	v_add_f64 v[0:1], v[0:1], v[169:170]
	v_add_f64 v[2:3], v[2:3], v[171:172]
	ds_load_b128 v[165:168], v193 offset:7040
	ds_load_b128 v[169:172], v193 offset:7920
	s_waitcnt lgkmcnt(1)
	v_add_f64 v[20:21], v[163:164], -v[167:168]
	s_waitcnt lgkmcnt(0)
	v_add_f64 v[28:29], v[158:159], -v[171:172]
	v_add_f64 v[30:31], v[158:159], v[171:172]
	v_add_f64 v[32:33], v[156:157], v[169:170]
	v_add_f64 v[34:35], v[156:157], -v[169:170]
	ds_load_b128 v[156:159], v193 offset:8800
	v_add_f64 v[24:25], v[161:162], v[165:166]
	v_add_f64 v[22:23], v[163:164], v[167:168]
	v_add_f64 v[26:27], v[161:162], -v[165:166]
	s_waitcnt lgkmcnt(0)
	s_barrier
	buffer_gl0_inv
	v_add_f64 v[0:1], v[0:1], v[173:174]
	v_add_f64 v[2:3], v[2:3], v[175:176]
	v_add_f64 v[36:37], v[154:155], -v[158:159]
	v_add_f64 v[38:39], v[154:155], v[158:159]
	v_add_f64 v[40:41], v[152:153], v[156:157]
	v_add_f64 v[42:43], v[152:153], -v[156:157]
	v_mul_f64 v[183:184], v[20:21], s[36:37]
	v_mul_f64 v[175:176], v[20:21], s[10:11]
	;; [unrolled: 1-line block ×7, first 2 shown]
	v_add_f64 v[0:1], v[0:1], v[177:178]
	v_add_f64 v[2:3], v[2:3], v[179:180]
	v_mul_f64 v[177:178], v[30:31], s[22:23]
	v_mul_f64 v[179:180], v[20:21], s[26:27]
	;; [unrolled: 1-line block ×7, first 2 shown]
	v_add_f64 v[0:1], v[0:1], v[165:166]
	v_add_f64 v[2:3], v[2:3], v[167:168]
	v_fma_f64 v[52:53], v[40:41], s[22:23], v[44:45]
	v_fma_f64 v[44:45], v[40:41], s[22:23], -v[44:45]
	v_fma_f64 v[54:55], v[40:41], s[18:19], v[46:47]
	v_fma_f64 v[46:47], v[40:41], s[18:19], -v[46:47]
	v_fma_f64 v[102:103], v[42:43], s[30:31], v[58:59]
	v_fma_f64 v[58:59], v[42:43], s[16:17], v[58:59]
	;; [unrolled: 1-line block ×6, first 2 shown]
	v_add_f64 v[0:1], v[0:1], v[169:170]
	v_add_f64 v[2:3], v[2:3], v[171:172]
	;; [unrolled: 1-line block ×14, first 2 shown]
	v_mul_f64 v[0:1], v[36:37], s[26:27]
	v_mul_f64 v[2:3], v[36:37], s[14:15]
	;; [unrolled: 1-line block ×3, first 2 shown]
	s_delay_alu instid0(VALU_DEP_3) | instskip(SKIP_1) | instid1(VALU_DEP_4)
	v_fma_f64 v[48:49], v[40:41], s[24:25], v[0:1]
	v_fma_f64 v[0:1], v[40:41], s[24:25], -v[0:1]
	v_fma_f64 v[50:51], v[40:41], s[20:21], v[2:3]
	v_fma_f64 v[2:3], v[40:41], s[20:21], -v[2:3]
	;; [unrolled: 2-line block ×3, first 2 shown]
	v_mul_f64 v[40:41], v[38:39], s[20:21]
	v_mul_f64 v[38:39], v[38:39], s[24:25]
	v_add_f64 v[0:1], v[148:149], v[0:1]
	v_add_f64 v[50:51], v[148:149], v[50:51]
	;; [unrolled: 1-line block ×5, first 2 shown]
	v_fma_f64 v[100:101], v[42:43], s[36:37], v[40:41]
	v_fma_f64 v[116:117], v[42:43], s[26:27], v[38:39]
	;; [unrolled: 1-line block ×4, first 2 shown]
	v_add_f64 v[42:43], v[148:149], v[48:49]
	v_add_f64 v[100:101], v[150:151], v[100:101]
	;; [unrolled: 1-line block ×3, first 2 shown]
	v_mul_f64 v[116:117], v[28:29], s[10:11]
	v_add_f64 v[40:41], v[150:151], v[40:41]
	v_add_f64 v[38:39], v[150:151], v[38:39]
	s_delay_alu instid0(VALU_DEP_3) | instskip(NEXT) | instid1(VALU_DEP_1)
	v_fma_f64 v[118:119], v[32:33], s[18:19], v[116:117]
	v_add_f64 v[50:51], v[118:119], v[50:51]
	v_mul_f64 v[118:119], v[30:31], s[18:19]
	v_mul_f64 v[30:31], v[30:31], s[20:21]
	s_delay_alu instid0(VALU_DEP_2) | instskip(NEXT) | instid1(VALU_DEP_1)
	v_fma_f64 v[120:121], v[34:35], s[0:1], v[118:119]
	v_add_f64 v[100:101], v[120:121], v[100:101]
	v_mul_f64 v[120:121], v[20:21], s[28:29]
	v_mul_f64 v[20:21], v[20:21], s[16:17]
	s_delay_alu instid0(VALU_DEP_2) | instskip(NEXT) | instid1(VALU_DEP_1)
	;; [unrolled: 5-line block ×5, first 2 shown]
	v_fma_f64 v[156:157], v[18:19], s[16:17], v[150:151]
	v_add_f64 v[100:101], v[156:157], v[100:101]
	v_fma_f64 v[156:157], v[4:5], s[24:25], v[185:186]
	s_delay_alu instid0(VALU_DEP_1) | instskip(SKIP_1) | instid1(VALU_DEP_1)
	v_add_f64 v[156:157], v[156:157], v[50:51]
	v_mul_f64 v[50:51], v[6:7], s[24:25]
	v_fma_f64 v[158:159], v[8:9], s[26:27], v[50:51]
	s_delay_alu instid0(VALU_DEP_1) | instskip(SKIP_1) | instid1(VALU_DEP_1)
	v_add_f64 v[158:159], v[158:159], v[100:101]
	v_mul_f64 v[100:101], v[28:29], s[28:29]
	v_fma_f64 v[161:162], v[32:33], s[12:13], v[100:101]
	s_delay_alu instid0(VALU_DEP_1) | instskip(SKIP_1) | instid1(VALU_DEP_1)
	v_add_f64 v[52:53], v[161:162], v[52:53]
	v_fma_f64 v[161:162], v[34:35], s[8:9], v[181:182]
	v_add_f64 v[102:103], v[161:162], v[102:103]
	v_fma_f64 v[161:162], v[24:25], s[20:21], v[183:184]
	s_delay_alu instid0(VALU_DEP_1) | instskip(SKIP_1) | instid1(VALU_DEP_1)
	v_add_f64 v[52:53], v[161:162], v[52:53]
	v_fma_f64 v[161:162], v[26:27], s[14:15], v[187:188]
	v_add_f64 v[102:103], v[161:162], v[102:103]
	;; [unrolled: 5-line block ×3, first 2 shown]
	v_fma_f64 v[161:162], v[4:5], s[18:19], v[194:195]
	s_delay_alu instid0(VALU_DEP_1) | instskip(SKIP_1) | instid1(VALU_DEP_1)
	v_add_f64 v[161:162], v[161:162], v[52:53]
	v_mul_f64 v[52:53], v[6:7], s[18:19]
	v_fma_f64 v[163:164], v[8:9], s[0:1], v[52:53]
	v_fma_f64 v[52:53], v[8:9], s[10:11], v[52:53]
	s_delay_alu instid0(VALU_DEP_2) | instskip(SKIP_1) | instid1(VALU_DEP_1)
	v_add_f64 v[163:164], v[163:164], v[102:103]
	v_mul_f64 v[102:103], v[28:29], s[30:31]
	v_fma_f64 v[165:166], v[32:33], s[22:23], v[102:103]
	s_delay_alu instid0(VALU_DEP_1) | instskip(SKIP_1) | instid1(VALU_DEP_1)
	v_add_f64 v[54:55], v[165:166], v[54:55]
	v_fma_f64 v[165:166], v[34:35], s[16:17], v[177:178]
	v_add_f64 v[112:113], v[165:166], v[112:113]
	v_fma_f64 v[165:166], v[24:25], s[24:25], v[179:180]
	s_delay_alu instid0(VALU_DEP_1) | instskip(SKIP_1) | instid1(VALU_DEP_1)
	v_add_f64 v[54:55], v[165:166], v[54:55]
	v_fma_f64 v[165:166], v[26:27], s[34:35], v[196:197]
	v_add_f64 v[112:113], v[165:166], v[112:113]
	;; [unrolled: 5-line block ×3, first 2 shown]
	v_fma_f64 v[165:166], v[4:5], s[20:21], v[202:203]
	s_delay_alu instid0(VALU_DEP_1) | instskip(SKIP_1) | instid1(VALU_DEP_1)
	v_add_f64 v[165:166], v[165:166], v[54:55]
	v_mul_f64 v[54:55], v[6:7], s[20:21]
	v_fma_f64 v[167:168], v[8:9], s[14:15], v[54:55]
	v_fma_f64 v[54:55], v[8:9], s[36:37], v[54:55]
	s_delay_alu instid0(VALU_DEP_2) | instskip(SKIP_1) | instid1(VALU_DEP_1)
	v_add_f64 v[167:168], v[167:168], v[112:113]
	v_mul_f64 v[112:113], v[28:29], s[34:35]
	v_fma_f64 v[169:170], v[32:33], s[24:25], v[112:113]
	v_fma_f64 v[112:113], v[32:33], s[24:25], -v[112:113]
	s_delay_alu instid0(VALU_DEP_2) | instskip(SKIP_1) | instid1(VALU_DEP_3)
	v_add_f64 v[56:57], v[169:170], v[56:57]
	v_fma_f64 v[169:170], v[34:35], s[26:27], v[173:174]
	v_add_f64 v[36:37], v[112:113], v[36:37]
	v_fma_f64 v[112:113], v[34:35], s[34:35], v[173:174]
	s_delay_alu instid0(VALU_DEP_3) | instskip(SKIP_1) | instid1(VALU_DEP_3)
	v_add_f64 v[114:115], v[169:170], v[114:115]
	v_fma_f64 v[169:170], v[24:25], s[18:19], v[175:176]
	v_add_f64 v[62:63], v[112:113], v[62:63]
	v_fma_f64 v[112:113], v[24:25], s[18:19], -v[175:176]
	s_delay_alu instid0(VALU_DEP_3) | instskip(SKIP_1) | instid1(VALU_DEP_3)
	v_add_f64 v[56:57], v[169:170], v[56:57]
	v_fma_f64 v[169:170], v[26:27], s[0:1], v[204:205]
	v_add_f64 v[36:37], v[112:113], v[36:37]
	v_fma_f64 v[112:113], v[26:27], s[10:11], v[204:205]
	s_delay_alu instid0(VALU_DEP_3) | instskip(SKIP_1) | instid1(VALU_DEP_3)
	v_add_f64 v[114:115], v[169:170], v[114:115]
	v_fma_f64 v[169:170], v[12:13], s[20:21], v[206:207]
	v_add_f64 v[62:63], v[112:113], v[62:63]
	v_fma_f64 v[112:113], v[12:13], s[20:21], -v[206:207]
	s_delay_alu instid0(VALU_DEP_3) | instskip(SKIP_1) | instid1(VALU_DEP_3)
	;; [unrolled: 10-line block ×3, first 2 shown]
	v_add_f64 v[169:170], v[169:170], v[56:57]
	v_mul_f64 v[56:57], v[6:7], s[22:23]
	v_add_f64 v[173:174], v[112:113], v[36:37]
	v_fma_f64 v[36:37], v[32:33], s[22:23], -v[102:103]
	v_mul_f64 v[6:7], v[6:7], s[12:13]
	s_delay_alu instid0(VALU_DEP_4) | instskip(SKIP_1) | instid1(VALU_DEP_4)
	v_fma_f64 v[171:172], v[8:9], s[30:31], v[56:57]
	v_fma_f64 v[56:57], v[8:9], s[16:17], v[56:57]
	v_add_f64 v[36:37], v[36:37], v[46:47]
	v_fma_f64 v[46:47], v[34:35], s[30:31], v[177:178]
	s_delay_alu instid0(VALU_DEP_4) | instskip(NEXT) | instid1(VALU_DEP_4)
	v_add_f64 v[171:172], v[171:172], v[114:115]
	v_add_f64 v[175:176], v[56:57], v[62:63]
	v_fma_f64 v[56:57], v[24:25], s[24:25], -v[179:180]
	s_delay_alu instid0(VALU_DEP_4) | instskip(NEXT) | instid1(VALU_DEP_2)
	v_add_f64 v[46:47], v[46:47], v[60:61]
	v_add_f64 v[36:37], v[56:57], v[36:37]
	v_fma_f64 v[56:57], v[26:27], s[26:27], v[196:197]
	s_delay_alu instid0(VALU_DEP_1) | instskip(SKIP_1) | instid1(VALU_DEP_1)
	v_add_f64 v[46:47], v[56:57], v[46:47]
	v_fma_f64 v[56:57], v[12:13], s[12:13], -v[198:199]
	v_add_f64 v[36:37], v[56:57], v[36:37]
	v_fma_f64 v[56:57], v[18:19], s[8:9], v[200:201]
	s_delay_alu instid0(VALU_DEP_1) | instskip(SKIP_1) | instid1(VALU_DEP_2)
	v_add_f64 v[46:47], v[56:57], v[46:47]
	v_fma_f64 v[56:57], v[4:5], s[20:21], -v[202:203]
	v_add_f64 v[179:180], v[54:55], v[46:47]
	s_delay_alu instid0(VALU_DEP_2) | instskip(SKIP_2) | instid1(VALU_DEP_2)
	v_add_f64 v[177:178], v[56:57], v[36:37]
	v_fma_f64 v[36:37], v[32:33], s[12:13], -v[100:101]
	v_fma_f64 v[46:47], v[24:25], s[20:21], -v[183:184]
	v_add_f64 v[36:37], v[36:37], v[44:45]
	v_fma_f64 v[44:45], v[34:35], s[28:29], v[181:182]
	s_delay_alu instid0(VALU_DEP_2) | instskip(NEXT) | instid1(VALU_DEP_2)
	v_add_f64 v[36:37], v[46:47], v[36:37]
	v_add_f64 v[44:45], v[44:45], v[58:59]
	v_fma_f64 v[46:47], v[26:27], s[36:37], v[187:188]
	s_delay_alu instid0(VALU_DEP_1) | instskip(SKIP_1) | instid1(VALU_DEP_1)
	v_add_f64 v[44:45], v[46:47], v[44:45]
	v_fma_f64 v[46:47], v[12:13], s[24:25], -v[189:190]
	v_add_f64 v[36:37], v[46:47], v[36:37]
	v_fma_f64 v[46:47], v[18:19], s[26:27], v[191:192]
	s_delay_alu instid0(VALU_DEP_1) | instskip(SKIP_1) | instid1(VALU_DEP_2)
	v_add_f64 v[44:45], v[46:47], v[44:45]
	v_fma_f64 v[46:47], v[4:5], s[18:19], -v[194:195]
	v_add_f64 v[183:184], v[52:53], v[44:45]
	s_delay_alu instid0(VALU_DEP_2) | instskip(SKIP_2) | instid1(VALU_DEP_2)
	v_add_f64 v[181:182], v[46:47], v[36:37]
	v_fma_f64 v[36:37], v[32:33], s[18:19], -v[116:117]
	v_fma_f64 v[44:45], v[8:9], s[34:35], v[50:51]
	v_add_f64 v[2:3], v[36:37], v[2:3]
	v_fma_f64 v[36:37], v[34:35], s[10:11], v[118:119]
	s_delay_alu instid0(VALU_DEP_1) | instskip(SKIP_1) | instid1(VALU_DEP_1)
	v_add_f64 v[36:37], v[36:37], v[40:41]
	v_fma_f64 v[40:41], v[24:25], s[12:13], -v[120:121]
	v_add_f64 v[2:3], v[40:41], v[2:3]
	v_fma_f64 v[40:41], v[26:27], s[28:29], v[122:123]
	s_delay_alu instid0(VALU_DEP_1) | instskip(SKIP_1) | instid1(VALU_DEP_1)
	v_add_f64 v[36:37], v[40:41], v[36:37]
	v_fma_f64 v[40:41], v[12:13], s[22:23], -v[148:149]
	v_add_f64 v[2:3], v[40:41], v[2:3]
	v_fma_f64 v[40:41], v[18:19], s[30:31], v[150:151]
	s_delay_alu instid0(VALU_DEP_1) | instskip(SKIP_1) | instid1(VALU_DEP_2)
	v_add_f64 v[36:37], v[40:41], v[36:37]
	v_fma_f64 v[40:41], v[4:5], s[24:25], -v[185:186]
	v_add_f64 v[187:188], v[44:45], v[36:37]
	s_delay_alu instid0(VALU_DEP_2) | instskip(SKIP_2) | instid1(VALU_DEP_2)
	v_add_f64 v[185:186], v[40:41], v[2:3]
	v_mul_f64 v[2:3], v[28:29], s[14:15]
	v_fma_f64 v[36:37], v[34:35], s[36:37], v[30:31]
	v_fma_f64 v[28:29], v[32:33], s[20:21], v[2:3]
	s_delay_alu instid0(VALU_DEP_2) | instskip(SKIP_4) | instid1(VALU_DEP_3)
	v_add_f64 v[36:37], v[36:37], v[38:39]
	v_fma_f64 v[38:39], v[24:25], s[22:23], v[20:21]
	v_fma_f64 v[2:3], v[32:33], s[20:21], -v[2:3]
	v_fma_f64 v[20:21], v[24:25], s[22:23], -v[20:21]
	v_add_f64 v[28:29], v[28:29], v[42:43]
	v_add_f64 v[0:1], v[2:3], v[0:1]
	s_delay_alu instid0(VALU_DEP_2) | instskip(SKIP_2) | instid1(VALU_DEP_4)
	v_add_f64 v[28:29], v[38:39], v[28:29]
	v_fma_f64 v[38:39], v[26:27], s[30:31], v[22:23]
	v_fma_f64 v[22:23], v[26:27], s[16:17], v[22:23]
	v_add_f64 v[0:1], v[20:21], v[0:1]
	s_delay_alu instid0(VALU_DEP_3) | instskip(SKIP_2) | instid1(VALU_DEP_2)
	v_add_f64 v[36:37], v[38:39], v[36:37]
	v_fma_f64 v[38:39], v[12:13], s[18:19], v[16:17]
	v_fma_f64 v[12:13], v[12:13], s[18:19], -v[16:17]
	v_add_f64 v[28:29], v[38:39], v[28:29]
	v_fma_f64 v[38:39], v[18:19], s[0:1], v[14:15]
	v_fma_f64 v[14:15], v[18:19], s[10:11], v[14:15]
	s_delay_alu instid0(VALU_DEP_4) | instskip(NEXT) | instid1(VALU_DEP_3)
	v_add_f64 v[0:1], v[12:13], v[0:1]
	v_add_f64 v[36:37], v[38:39], v[36:37]
	v_fma_f64 v[38:39], v[4:5], s[12:13], v[10:11]
	v_fma_f64 v[4:5], v[4:5], s[12:13], -v[10:11]
	s_delay_alu instid0(VALU_DEP_2) | instskip(SKIP_2) | instid1(VALU_DEP_4)
	v_add_f64 v[198:199], v[38:39], v[28:29]
	v_fma_f64 v[28:29], v[8:9], s[28:29], v[6:7]
	v_fma_f64 v[6:7], v[8:9], s[8:9], v[6:7]
	v_add_f64 v[148:149], v[4:5], v[0:1]
	s_delay_alu instid0(VALU_DEP_3) | instskip(SKIP_1) | instid1(VALU_DEP_1)
	v_add_f64 v[200:201], v[28:29], v[36:37]
	v_fma_f64 v[28:29], v[34:35], s[14:15], v[30:31]
	v_add_f64 v[2:3], v[28:29], v[48:49]
	s_delay_alu instid0(VALU_DEP_1) | instskip(NEXT) | instid1(VALU_DEP_1)
	v_add_f64 v[2:3], v[22:23], v[2:3]
	v_add_f64 v[2:3], v[14:15], v[2:3]
	s_delay_alu instid0(VALU_DEP_1)
	v_add_f64 v[150:151], v[6:7], v[2:3]
	ds_store_b128 v160, v[156:159] offset:32
	ds_store_b128 v160, v[161:164] offset:48
	;; [unrolled: 1-line block ×9, first 2 shown]
	ds_store_b128 v160, v[152:155]
	ds_store_b128 v160, v[148:151] offset:160
	s_waitcnt lgkmcnt(0)
	s_barrier
	buffer_gl0_inv
	ds_load_b128 v[156:159], v193
	ds_load_b128 v[152:155], v193 offset:880
	ds_load_b128 v[176:179], v193 offset:1936
	;; [unrolled: 1-line block ×9, first 2 shown]
	s_and_saveexec_b32 s0, vcc_lo
	s_cbranch_execz .LBB0_7
; %bb.6:
	ds_load_b128 v[148:151], v193 offset:1760
	ds_load_b128 v[0:3], v193 offset:3696
	s_waitcnt lgkmcnt(0)
	scratch_store_b128 off, v[0:3], off     ; 16-byte Folded Spill
	ds_load_b128 v[0:3], v193 offset:5632
	s_waitcnt lgkmcnt(0)
	scratch_store_b128 off, v[0:3], off offset:32 ; 16-byte Folded Spill
	ds_load_b128 v[0:3], v193 offset:7568
	s_waitcnt lgkmcnt(0)
	scratch_store_b128 off, v[0:3], off offset:48 ; 16-byte Folded Spill
	;; [unrolled: 3-line block ×3, first 2 shown]
.LBB0_7:
	s_or_b32 exec_lo, exec_lo, s0
	scratch_load_b128 v[32:35], off, off offset:268 ; 16-byte Folded Reload
	s_waitcnt lgkmcnt(7)
	v_mul_f64 v[0:1], v[66:67], v[178:179]
	s_waitcnt lgkmcnt(1)
	v_mul_f64 v[8:9], v[74:75], v[190:191]
	v_mul_f64 v[6:7], v[66:67], v[176:177]
	;; [unrolled: 1-line block ×8, first 2 shown]
	s_waitcnt lgkmcnt(0)
	v_mul_f64 v[30:31], v[90:91], v[172:173]
	v_mul_f64 v[18:19], v[78:79], v[166:167]
	s_mov_b32 s0, 0x134454ff
	s_mov_b32 s1, 0xbfee6f0e
	;; [unrolled: 1-line block ×4, first 2 shown]
	v_mul_f64 v[16:17], v[82:83], v[162:163]
	v_mul_f64 v[24:25], v[90:91], v[174:175]
	s_mov_b32 s12, 0x4755a5e
	s_mov_b32 s13, 0xbfe2cf23
	;; [unrolled: 1-line block ×6, first 2 shown]
	s_waitcnt vmcnt(0)
	s_waitcnt_vscnt null, 0x0
	s_barrier
	buffer_gl0_inv
	v_mul_f64 v[20:21], v[86:87], v[170:171]
	v_fma_f64 v[0:1], v[64:65], v[176:177], v[0:1]
	v_fma_f64 v[8:9], v[72:73], v[188:189], v[8:9]
	v_fma_f64 v[6:7], v[64:65], v[178:179], -v[6:7]
	v_fma_f64 v[12:13], v[68:69], v[186:187], -v[12:13]
	v_fma_f64 v[22:23], v[80:81], v[162:163], -v[22:23]
	v_fma_f64 v[4:5], v[68:69], v[184:185], v[4:5]
	v_fma_f64 v[14:15], v[72:73], v[190:191], -v[14:15]
	v_fma_f64 v[26:27], v[76:77], v[166:167], -v[26:27]
	;; [unrolled: 1-line block ×4, first 2 shown]
	v_fma_f64 v[18:19], v[76:77], v[164:165], v[18:19]
	v_fma_f64 v[16:17], v[80:81], v[160:161], v[16:17]
	;; [unrolled: 1-line block ×4, first 2 shown]
	v_add_f64 v[48:49], v[156:157], v[0:1]
	v_add_f64 v[60:61], v[0:1], -v[8:9]
	v_add_f64 v[54:55], v[158:159], v[6:7]
	v_add_f64 v[58:59], v[154:155], v[22:23]
	v_add_f64 v[76:77], v[4:5], -v[8:9]
	v_add_f64 v[38:39], v[6:7], v[14:15]
	v_add_f64 v[50:51], v[6:7], -v[14:15]
	v_add_f64 v[44:45], v[26:27], v[28:29]
	v_add_f64 v[46:47], v[22:23], v[30:31]
	v_add_f64 v[64:65], v[22:23], -v[30:31]
	v_add_f64 v[66:67], v[26:27], -v[28:29]
	;; [unrolled: 1-line block ×9, first 2 shown]
	v_add_f64 v[56:57], v[152:153], v[16:17]
	v_add_f64 v[42:43], v[16:17], v[24:25]
	v_add_f64 v[68:69], v[16:17], -v[24:25]
	v_add_f64 v[84:85], v[16:17], -v[18:19]
	;; [unrolled: 1-line block ×3, first 2 shown]
	v_add_f64 v[40:41], v[18:19], v[20:21]
	v_add_f64 v[70:71], v[18:19], -v[20:21]
	v_add_f64 v[86:87], v[24:25], -v[20:21]
	;; [unrolled: 1-line block ×3, first 2 shown]
	v_add_f64 v[26:27], v[58:59], v[26:27]
	v_fma_f64 v[38:39], v[38:39], -0.5, v[158:159]
	v_fma_f64 v[44:45], v[44:45], -0.5, v[154:155]
	;; [unrolled: 1-line block ×3, first 2 shown]
	v_add_f64 v[90:91], v[90:91], v[100:101]
	v_add_f64 v[22:23], v[22:23], v[102:103]
	;; [unrolled: 1-line block ×3, first 2 shown]
	v_fma_f64 v[42:43], v[42:43], -0.5, v[152:153]
	v_fma_f64 v[40:41], v[40:41], -0.5, v[152:153]
	v_add_f64 v[86:87], v[84:85], v[86:87]
	v_add_f64 v[16:17], v[16:17], v[88:89]
	v_fma_f64 v[116:117], v[68:69], s[8:9], v[44:45]
	v_fma_f64 v[118:119], v[70:71], s[0:1], v[46:47]
	;; [unrolled: 1-line block ×11, first 2 shown]
	s_delay_alu instid0(VALU_DEP_4) | instskip(NEXT) | instid1(VALU_DEP_1)
	v_fma_f64 v[40:41], v[66:67], s[10:11], v[40:41]
	v_fma_f64 v[88:89], v[86:87], s[14:15], v[40:41]
	v_mul_f64 v[10:11], v[34:35], v[180:181]
	v_mul_f64 v[2:3], v[34:35], v[182:183]
	v_add_f64 v[34:35], v[0:1], v[8:9]
	s_delay_alu instid0(VALU_DEP_3) | instskip(NEXT) | instid1(VALU_DEP_3)
	v_fma_f64 v[10:11], v[32:33], v[182:183], -v[10:11]
	v_fma_f64 v[2:3], v[32:33], v[180:181], v[2:3]
	s_delay_alu instid0(VALU_DEP_3) | instskip(NEXT) | instid1(VALU_DEP_3)
	v_fma_f64 v[34:35], v[34:35], -0.5, v[156:157]
	v_add_f64 v[52:53], v[10:11], -v[12:13]
	s_delay_alu instid0(VALU_DEP_3)
	v_add_f64 v[32:33], v[2:3], v[4:5]
	v_add_f64 v[36:37], v[10:11], v[12:13]
	v_add_f64 v[62:63], v[2:3], -v[4:5]
	v_add_f64 v[72:73], v[0:1], -v[2:3]
	;; [unrolled: 1-line block ×5, first 2 shown]
	v_add_f64 v[2:3], v[48:49], v[2:3]
	v_add_f64 v[10:11], v[54:55], v[10:11]
	v_fma_f64 v[54:55], v[52:53], s[8:9], v[34:35]
	v_fma_f64 v[34:35], v[52:53], s[0:1], v[34:35]
	v_fma_f64 v[32:33], v[32:33], -0.5, v[156:157]
	v_fma_f64 v[36:37], v[36:37], -0.5, v[158:159]
	v_add_f64 v[72:73], v[72:73], v[74:75]
	v_add_f64 v[0:1], v[0:1], v[76:77]
	;; [unrolled: 1-line block ×3, first 2 shown]
	v_fma_f64 v[58:59], v[62:63], s[0:1], v[38:39]
	v_add_f64 v[2:3], v[2:3], v[4:5]
	v_add_f64 v[4:5], v[10:11], v[12:13]
	;; [unrolled: 1-line block ×3, first 2 shown]
	v_fma_f64 v[38:39], v[62:63], s[8:9], v[38:39]
	v_add_f64 v[10:11], v[18:19], v[20:21]
	v_add_f64 v[6:7], v[6:7], v[82:83]
	v_fma_f64 v[156:157], v[16:17], s[14:15], v[42:43]
	v_fma_f64 v[158:159], v[22:23], s[14:15], v[46:47]
	;; [unrolled: 1-line block ×11, first 2 shown]
	v_add_f64 v[64:65], v[10:11], v[24:25]
	v_fma_f64 v[76:77], v[0:1], s[14:15], v[26:27]
	v_fma_f64 v[80:81], v[0:1], s[14:15], v[28:29]
	scratch_load_b32 v0, off, off offset:292 ; 4-byte Folded Reload
	v_fma_f64 v[18:19], v[52:53], s[12:13], v[48:49]
	v_fma_f64 v[20:21], v[52:53], s[10:11], v[32:33]
	v_fma_f64 v[32:33], v[62:63], s[10:11], v[56:57]
	v_fma_f64 v[34:35], v[62:63], s[12:13], v[36:37]
	v_fma_f64 v[36:37], v[60:61], s[10:11], v[58:59]
	v_add_f64 v[60:61], v[2:3], v[8:9]
	v_add_f64 v[62:63], v[4:5], v[14:15]
	v_fma_f64 v[52:53], v[70:71], s[10:11], v[116:117]
	v_fma_f64 v[82:83], v[6:7], s[14:15], v[38:39]
	;; [unrolled: 1-line block ×3, first 2 shown]
	v_add_f64 v[66:67], v[12:13], v[30:31]
	v_fma_f64 v[152:153], v[16:17], s[14:15], v[50:51]
	v_fma_f64 v[154:155], v[22:23], s[14:15], v[54:55]
	;; [unrolled: 1-line block ×7, first 2 shown]
	s_waitcnt vmcnt(0)
	ds_store_b128 v0, v[60:63]
	ds_store_b128 v0, v[68:71] offset:176
	ds_store_b128 v0, v[76:79] offset:352
	;; [unrolled: 1-line block ×4, first 2 shown]
	scratch_load_b32 v0, off, off offset:288 ; 4-byte Folded Reload
	v_fma_f64 v[84:85], v[86:87], s[14:15], v[48:49]
	v_fma_f64 v[86:87], v[90:91], s[14:15], v[52:53]
	;; [unrolled: 1-line block ×3, first 2 shown]
	s_waitcnt vmcnt(0)
	ds_store_b128 v0, v[64:67]
	ds_store_b128 v0, v[84:87] offset:176
	ds_store_b128 v0, v[152:155] offset:352
	;; [unrolled: 1-line block ×4, first 2 shown]
	s_and_saveexec_b32 s16, vcc_lo
	s_cbranch_execz .LBB0_9
; %bb.8:
	s_clause 0x7
	scratch_load_b128 v[16:19], off, off offset:296
	scratch_load_b128 v[40:43], off, off offset:32
	;; [unrolled: 1-line block ×3, first 2 shown]
	scratch_load_b128 v[32:35], off, off
	scratch_load_b128 v[28:31], off, off offset:344
	scratch_load_b128 v[36:39], off, off offset:16
	;; [unrolled: 1-line block ×4, first 2 shown]
	s_waitcnt vmcnt(6)
	v_mul_f64 v[0:1], v[18:19], v[40:41]
	s_waitcnt vmcnt(4)
	v_mul_f64 v[2:3], v[22:23], v[32:33]
	;; [unrolled: 2-line block ×4, first 2 shown]
	v_mul_f64 v[14:15], v[30:31], v[38:39]
	v_mul_f64 v[8:9], v[18:19], v[42:43]
	;; [unrolled: 1-line block ×4, first 2 shown]
	v_fma_f64 v[0:1], v[16:17], v[42:43], -v[0:1]
	v_fma_f64 v[2:3], v[20:21], v[34:35], -v[2:3]
	;; [unrolled: 1-line block ×4, first 2 shown]
	v_fma_f64 v[14:15], v[28:29], v[36:37], v[14:15]
	v_fma_f64 v[8:9], v[16:17], v[40:41], v[8:9]
	v_fma_f64 v[10:11], v[24:25], v[44:45], v[10:11]
	v_fma_f64 v[12:13], v[20:21], v[32:33], v[12:13]
	v_add_f64 v[28:29], v[150:151], v[2:3]
	v_add_f64 v[16:17], v[2:3], v[4:5]
	;; [unrolled: 1-line block ×3, first 2 shown]
	v_add_f64 v[32:33], v[2:3], -v[4:5]
	v_add_f64 v[34:35], v[0:1], -v[6:7]
	;; [unrolled: 1-line block ×4, first 2 shown]
	v_add_f64 v[22:23], v[12:13], v[14:15]
	v_add_f64 v[26:27], v[12:13], -v[14:15]
	v_add_f64 v[30:31], v[148:149], v[12:13]
	v_add_f64 v[42:43], v[8:9], -v[12:13]
	v_add_f64 v[12:13], v[12:13], -v[8:9]
	;; [unrolled: 1-line block ×3, first 2 shown]
	v_add_f64 v[20:21], v[8:9], v[10:11]
	v_add_f64 v[24:25], v[8:9], -v[10:11]
	v_add_f64 v[40:41], v[4:5], -v[6:7]
	v_add_f64 v[38:39], v[6:7], -v[4:5]
	v_add_f64 v[44:45], v[10:11], -v[14:15]
	v_add_f64 v[0:1], v[28:29], v[0:1]
	v_fma_f64 v[16:17], v[16:17], -0.5, v[150:151]
	v_fma_f64 v[18:19], v[18:19], -0.5, v[150:151]
	;; [unrolled: 1-line block ×3, first 2 shown]
	v_add_f64 v[8:9], v[30:31], v[8:9]
	v_add_f64 v[12:13], v[12:13], v[46:47]
	v_fma_f64 v[20:21], v[20:21], -0.5, v[148:149]
	v_add_f64 v[2:3], v[2:3], v[40:41]
	v_add_f64 v[36:37], v[36:37], v[38:39]
	;; [unrolled: 1-line block ×4, first 2 shown]
	v_fma_f64 v[28:29], v[24:25], s[8:9], v[16:17]
	v_fma_f64 v[16:17], v[24:25], s[0:1], v[16:17]
	;; [unrolled: 1-line block ×6, first 2 shown]
	v_add_f64 v[6:7], v[8:9], v[10:11]
	v_fma_f64 v[48:49], v[32:33], s[0:1], v[20:21]
	v_fma_f64 v[20:21], v[32:33], s[8:9], v[20:21]
	v_add_f64 v[46:47], v[0:1], v[4:5]
	scratch_load_b32 v0, off, off offset:284 ; 4-byte Folded Reload
	v_fma_f64 v[10:11], v[26:27], s[10:11], v[16:17]
	v_fma_f64 v[16:17], v[24:25], s[12:13], v[30:31]
	;; [unrolled: 1-line block ×6, first 2 shown]
	v_add_f64 v[44:45], v[6:7], v[14:15]
	v_fma_f64 v[24:25], v[34:35], s[12:13], v[48:49]
	v_fma_f64 v[20:21], v[34:35], s[10:11], v[20:21]
	v_fma_f64 v[54:55], v[36:37], s[14:15], v[10:11]
	v_fma_f64 v[58:59], v[2:3], s[14:15], v[16:17]
	v_fma_f64 v[62:63], v[2:3], s[14:15], v[18:19]
	v_fma_f64 v[50:51], v[36:37], s[14:15], v[8:9]
	v_fma_f64 v[52:53], v[38:39], s[14:15], v[26:27]
	v_fma_f64 v[48:49], v[38:39], s[14:15], v[22:23]
	v_fma_f64 v[60:61], v[12:13], s[14:15], v[24:25]
	v_fma_f64 v[56:57], v[12:13], s[14:15], v[20:21]
	s_waitcnt vmcnt(0)
	v_lshlrev_b32_e32 v0, 4, v0
	ds_store_b128 v0, v[44:47] offset:8800
	ds_store_b128 v0, v[60:63] offset:8976
	;; [unrolled: 1-line block ×5, first 2 shown]
.LBB0_9:
	s_or_b32 exec_lo, exec_lo, s16
	s_waitcnt lgkmcnt(0)
	s_barrier
	buffer_gl0_inv
	ds_load_b128 v[44:47], v193 offset:880
	ds_load_b128 v[52:55], v193 offset:8800
	ds_load_b128 v[56:59], v193 offset:1760
	ds_load_b128 v[60:63], v193 offset:7920
	ds_load_b128 v[64:67], v193 offset:2640
	ds_load_b128 v[68:71], v193 offset:7040
	ds_load_b128 v[72:75], v193 offset:3520
	ds_load_b128 v[76:79], v193 offset:4400
	ds_load_b128 v[80:83], v193 offset:6160
	ds_load_b128 v[84:87], v193 offset:5280
	s_mov_b32 s0, 0xf8bb580b
	s_mov_b32 s8, 0x8764f0ba
	;; [unrolled: 1-line block ×14, first 2 shown]
	s_waitcnt lgkmcnt(8)
	v_mul_f64 v[4:5], v[94:95], v[52:53]
	s_waitcnt lgkmcnt(7)
	v_mul_f64 v[6:7], v[106:107], v[56:57]
	v_mul_f64 v[0:1], v[98:99], v[46:47]
	;; [unrolled: 1-line block ×3, first 2 shown]
	s_waitcnt lgkmcnt(6)
	v_mul_f64 v[8:9], v[110:111], v[60:61]
	v_mul_f64 v[10:11], v[106:107], v[58:59]
	s_waitcnt lgkmcnt(5)
	v_mul_f64 v[12:13], v[130:131], v[64:65]
	s_waitcnt lgkmcnt(4)
	v_mul_f64 v[14:15], v[138:139], v[68:69]
	v_mul_f64 v[18:19], v[130:131], v[66:67]
	;; [unrolled: 1-line block ×3, first 2 shown]
	s_waitcnt lgkmcnt(3)
	v_mul_f64 v[26:27], v[126:127], v[72:73]
	s_waitcnt lgkmcnt(1)
	v_mul_f64 v[28:29], v[134:135], v[82:83]
	v_mul_f64 v[34:35], v[146:147], v[76:77]
	;; [unrolled: 1-line block ×7, first 2 shown]
	s_mov_b32 s25, 0xbfe82f19
	s_mov_b32 s27, 0xbfe4f49e
	;; [unrolled: 1-line block ×16, first 2 shown]
	v_fma_f64 v[48:49], v[92:93], v[54:55], -v[4:5]
	v_fma_f64 v[4:5], v[104:105], v[58:59], -v[6:7]
	v_fma_f64 v[0:1], v[96:97], v[44:45], v[0:1]
	v_fma_f64 v[2:3], v[96:97], v[46:47], -v[2:3]
	ds_load_b128 v[44:47], v193
	s_waitcnt lgkmcnt(1)
	v_mul_f64 v[36:37], v[142:143], v[86:87]
	v_fma_f64 v[50:51], v[108:109], v[62:63], -v[8:9]
	v_fma_f64 v[6:7], v[104:105], v[56:57], v[10:11]
	v_mul_f64 v[38:39], v[142:143], v[84:85]
	v_fma_f64 v[12:13], v[128:129], v[66:67], -v[12:13]
	v_fma_f64 v[56:57], v[136:137], v[70:71], -v[14:15]
	v_fma_f64 v[14:15], v[128:129], v[64:65], v[18:19]
	v_fma_f64 v[54:55], v[108:109], v[60:61], v[20:21]
	v_fma_f64 v[18:19], v[124:125], v[74:75], -v[26:27]
	v_fma_f64 v[20:21], v[132:133], v[80:81], v[28:29]
	v_fma_f64 v[26:27], v[144:145], v[78:79], -v[34:35]
	v_fma_f64 v[52:53], v[92:93], v[52:53], v[16:17]
	v_fma_f64 v[16:17], v[124:125], v[72:73], v[22:23]
	;; [unrolled: 1-line block ×3, first 2 shown]
	v_fma_f64 v[22:23], v[132:133], v[82:83], -v[30:31]
	v_fma_f64 v[24:25], v[144:145], v[76:77], v[32:33]
	s_waitcnt lgkmcnt(0)
	v_add_f64 v[8:9], v[44:45], v[0:1]
	v_add_f64 v[10:11], v[46:47], v[2:3]
	v_add_f64 v[32:33], v[2:3], -v[48:49]
	v_fma_f64 v[28:29], v[140:141], v[84:85], v[36:37]
	v_add_f64 v[34:35], v[4:5], -v[50:51]
	v_add_f64 v[36:37], v[4:5], v[50:51]
	v_fma_f64 v[30:31], v[140:141], v[86:87], -v[38:39]
	v_add_f64 v[2:3], v[2:3], v[48:49]
	v_add_f64 v[38:39], v[12:13], v[56:57]
	;; [unrolled: 1-line block ×4, first 2 shown]
	v_add_f64 v[0:1], v[0:1], -v[52:53]
	v_add_f64 v[64:65], v[16:17], v[20:21]
	v_add_f64 v[66:67], v[18:19], v[22:23]
	v_add_f64 v[68:69], v[18:19], -v[22:23]
	v_add_f64 v[70:71], v[16:17], -v[20:21]
	v_add_f64 v[60:61], v[14:15], v[58:59]
	v_add_f64 v[62:63], v[14:15], -v[58:59]
	v_add_f64 v[8:9], v[8:9], v[6:7]
	v_add_f64 v[4:5], v[10:11], v[4:5]
	v_mul_f64 v[80:81], v[32:33], s[0:1]
	v_mul_f64 v[84:85], v[32:33], s[12:13]
	v_mul_f64 v[88:89], v[32:33], s[18:19]
	v_mul_f64 v[92:93], v[32:33], s[24:25]
	v_add_f64 v[74:75], v[26:27], v[30:31]
	v_mul_f64 v[82:83], v[2:3], s[8:9]
	v_mul_f64 v[86:87], v[2:3], s[14:15]
	;; [unrolled: 1-line block ×6, first 2 shown]
	v_add_f64 v[10:11], v[12:13], -v[56:57]
	v_add_f64 v[6:7], v[6:7], -v[54:55]
	v_mul_f64 v[96:97], v[34:35], s[12:13]
	v_mul_f64 v[98:99], v[36:37], s[14:15]
	;; [unrolled: 1-line block ×10, first 2 shown]
	v_add_f64 v[72:73], v[24:25], v[28:29]
	v_add_f64 v[76:77], v[24:25], -v[28:29]
	v_add_f64 v[78:79], v[26:27], -v[30:31]
	v_mul_f64 v[38:39], v[38:39], s[26:27]
	v_mul_f64 v[124:125], v[68:69], s[24:25]
	;; [unrolled: 1-line block ×10, first 2 shown]
	v_add_f64 v[8:9], v[8:9], v[14:15]
	v_add_f64 v[4:5], v[4:5], v[12:13]
	v_mul_f64 v[12:13], v[36:37], s[26:27]
	v_fma_f64 v[156:157], v[40:41], s[14:15], v[84:85]
	v_mul_f64 v[14:15], v[34:35], s[36:37]
	v_fma_f64 v[84:85], v[40:41], s[14:15], -v[84:85]
	v_mul_f64 v[142:143], v[74:75], s[34:35]
	v_mul_f64 v[146:147], v[74:75], s[8:9]
	;; [unrolled: 1-line block ×4, first 2 shown]
	v_fma_f64 v[158:159], v[0:1], s[16:17], v[86:87]
	v_fma_f64 v[160:161], v[40:41], s[20:21], v[88:89]
	;; [unrolled: 1-line block ×3, first 2 shown]
	v_fma_f64 v[88:89], v[40:41], s[20:21], -v[88:89]
	v_fma_f64 v[164:165], v[40:41], s[26:27], v[92:93]
	v_fma_f64 v[166:167], v[0:1], s[28:29], v[94:95]
	v_mul_f64 v[34:35], v[34:35], s[10:11]
	v_mul_f64 v[36:37], v[36:37], s[8:9]
	v_fma_f64 v[92:93], v[40:41], s[26:27], -v[92:93]
	v_fma_f64 v[168:169], v[40:41], s[34:35], v[32:33]
	v_fma_f64 v[170:171], v[0:1], s[36:37], v[2:3]
	;; [unrolled: 1-line block ×5, first 2 shown]
	v_fma_f64 v[32:33], v[40:41], s[34:35], -v[32:33]
	v_mul_f64 v[108:109], v[10:11], s[18:19]
	v_mul_f64 v[112:113], v[10:11], s[36:37]
	v_fma_f64 v[172:173], v[42:43], s[26:27], v[100:101]
	v_mul_f64 v[116:117], v[10:11], s[16:17]
	v_fma_f64 v[100:101], v[42:43], s[26:27], -v[100:101]
	v_fma_f64 v[178:179], v[6:7], s[30:31], v[102:103]
	v_mul_f64 v[120:121], v[10:11], s[0:1]
	v_fma_f64 v[180:181], v[42:43], s[20:21], v[104:105]
	v_fma_f64 v[182:183], v[6:7], s[18:19], v[106:107]
	v_mul_f64 v[10:11], v[10:11], s[24:25]
	v_fma_f64 v[104:105], v[42:43], s[20:21], -v[104:105]
	v_fma_f64 v[102:103], v[6:7], s[36:37], v[102:103]
	v_fma_f64 v[186:187], v[62:63], s[30:31], v[114:115]
	v_add_f64 v[8:9], v[8:9], v[16:17]
	v_add_f64 v[4:5], v[4:5], v[18:19]
	v_mul_f64 v[16:17], v[74:75], s[20:21]
	v_fma_f64 v[18:19], v[40:41], s[8:9], v[80:81]
	v_fma_f64 v[74:75], v[0:1], s[10:11], v[82:83]
	v_fma_f64 v[80:81], v[40:41], s[8:9], -v[80:81]
	v_fma_f64 v[82:83], v[0:1], s[0:1], v[82:83]
	v_fma_f64 v[0:1], v[0:1], s[30:31], v[2:3]
	v_fma_f64 v[2:3], v[42:43], s[14:15], v[96:97]
	v_fma_f64 v[40:41], v[6:7], s[16:17], v[98:99]
	v_fma_f64 v[96:97], v[42:43], s[14:15], -v[96:97]
	v_fma_f64 v[98:99], v[6:7], s[12:13], v[98:99]
	v_fma_f64 v[174:175], v[6:7], s[28:29], v[12:13]
	v_add_f64 v[156:157], v[44:45], v[156:157]
	v_add_f64 v[158:159], v[46:47], v[158:159]
	v_fma_f64 v[176:177], v[42:43], s[34:35], v[14:15]
	v_add_f64 v[84:85], v[44:45], v[84:85]
	v_add_f64 v[160:161], v[44:45], v[160:161]
	;; [unrolled: 1-line block ×3, first 2 shown]
	v_fma_f64 v[14:15], v[42:43], s[34:35], -v[14:15]
	v_add_f64 v[88:89], v[44:45], v[88:89]
	v_add_f64 v[164:165], v[44:45], v[164:165]
	;; [unrolled: 1-line block ×6, first 2 shown]
	v_fma_f64 v[12:13], v[6:7], s[24:25], v[12:13]
	v_add_f64 v[32:33], v[44:45], v[32:33]
	v_add_f64 v[90:91], v[46:47], v[90:91]
	v_add_f64 v[86:87], v[46:47], v[86:87]
	v_fma_f64 v[184:185], v[60:61], s[34:35], v[112:113]
	v_fma_f64 v[188:189], v[60:61], s[14:15], v[116:117]
	;; [unrolled: 1-line block ×3, first 2 shown]
	v_fma_f64 v[112:113], v[60:61], s[34:35], -v[112:113]
	v_fma_f64 v[116:117], v[60:61], s[14:15], -v[116:117]
	v_mul_f64 v[66:67], v[66:67], s[14:15]
	v_fma_f64 v[118:119], v[62:63], s[16:17], v[118:119]
	v_fma_f64 v[114:115], v[62:63], s[36:37], v[114:115]
	v_add_f64 v[8:9], v[8:9], v[24:25]
	v_add_f64 v[4:5], v[4:5], v[26:27]
	v_fma_f64 v[24:25], v[6:7], s[22:23], v[106:107]
	v_add_f64 v[18:19], v[44:45], v[18:19]
	v_fma_f64 v[26:27], v[42:43], s[8:9], v[34:35]
	v_add_f64 v[80:81], v[44:45], v[80:81]
	v_add_f64 v[82:83], v[46:47], v[82:83]
	v_fma_f64 v[106:107], v[6:7], s[0:1], v[36:37]
	v_fma_f64 v[34:35], v[42:43], s[8:9], -v[34:35]
	v_fma_f64 v[6:7], v[6:7], s[10:11], v[36:37]
	v_add_f64 v[0:1], v[46:47], v[0:1]
	v_add_f64 v[44:45], v[46:47], v[94:95]
	v_fma_f64 v[36:37], v[60:61], s[20:21], v[108:109]
	v_fma_f64 v[42:43], v[62:63], s[22:23], v[110:111]
	;; [unrolled: 1-line block ×4, first 2 shown]
	v_add_f64 v[84:85], v[100:101], v[84:85]
	v_fma_f64 v[108:109], v[60:61], s[20:21], -v[108:109]
	v_add_f64 v[100:101], v[178:179], v[162:163]
	v_mul_f64 v[144:145], v[78:79], s[10:11]
	v_add_f64 v[14:15], v[14:15], v[88:89]
	v_add_f64 v[88:89], v[180:181], v[164:165]
	v_fma_f64 v[194:195], v[64:65], s[20:21], v[128:129]
	v_add_f64 v[92:93], v[104:105], v[92:93]
	v_fma_f64 v[196:197], v[70:71], s[18:19], v[130:131]
	v_mul_f64 v[140:141], v[78:79], s[30:31]
	v_mul_f64 v[148:149], v[78:79], s[24:25]
	;; [unrolled: 1-line block ×3, first 2 shown]
	v_fma_f64 v[128:129], v[64:65], s[20:21], -v[128:129]
	v_add_f64 v[12:13], v[12:13], v[86:87]
	v_fma_f64 v[86:87], v[70:71], s[36:37], v[138:139]
	v_mul_f64 v[78:79], v[78:79], s[18:19]
	v_fma_f64 v[130:131], v[70:71], s[22:23], v[130:131]
	v_add_f64 v[8:9], v[8:9], v[28:29]
	v_add_f64 v[4:5], v[4:5], v[30:31]
	;; [unrolled: 1-line block ×4, first 2 shown]
	v_fma_f64 v[30:31], v[60:61], s[8:9], v[120:121]
	v_add_f64 v[18:19], v[96:97], v[80:81]
	v_add_f64 v[80:81], v[98:99], v[82:83]
	;; [unrolled: 1-line block ×5, first 2 shown]
	v_fma_f64 v[46:47], v[62:63], s[10:11], v[122:123]
	v_add_f64 v[156:157], v[182:183], v[166:167]
	v_fma_f64 v[74:75], v[60:61], s[8:9], -v[120:121]
	v_fma_f64 v[120:121], v[60:61], s[26:27], v[10:11]
	v_fma_f64 v[122:123], v[62:63], s[28:29], v[38:39]
	v_add_f64 v[26:27], v[26:27], v[168:169]
	v_add_f64 v[104:105], v[106:107], v[170:171]
	v_fma_f64 v[10:11], v[60:61], s[26:27], -v[10:11]
	v_fma_f64 v[38:39], v[62:63], s[24:25], v[38:39]
	v_add_f64 v[32:33], v[34:35], v[32:33]
	v_add_f64 v[0:1], v[6:7], v[0:1]
	;; [unrolled: 1-line block ×4, first 2 shown]
	v_fma_f64 v[60:61], v[64:65], s[26:27], v[124:125]
	v_fma_f64 v[34:35], v[64:65], s[8:9], -v[132:133]
	v_fma_f64 v[44:45], v[64:65], s[34:35], v[136:137]
	v_add_f64 v[84:85], v[112:113], v[84:85]
	v_add_f64 v[14:15], v[116:117], v[14:15]
	v_fma_f64 v[106:107], v[64:65], s[14:15], v[68:69]
	v_fma_f64 v[124:125], v[64:65], s[26:27], -v[124:125]
	v_fma_f64 v[90:91], v[64:65], s[34:35], -v[136:137]
	v_fma_f64 v[102:103], v[70:71], s[30:31], v[138:139]
	v_add_f64 v[12:13], v[114:115], v[12:13]
	v_fma_f64 v[62:63], v[70:71], s[28:29], v[126:127]
	v_fma_f64 v[126:127], v[70:71], s[24:25], v[126:127]
	;; [unrolled: 1-line block ×5, first 2 shown]
	v_add_f64 v[8:9], v[8:9], v[20:21]
	v_add_f64 v[4:5], v[4:5], v[22:23]
	;; [unrolled: 1-line block ×4, first 2 shown]
	v_fma_f64 v[22:23], v[64:65], s[8:9], v[132:133]
	v_fma_f64 v[28:29], v[70:71], s[10:11], v[134:135]
	v_add_f64 v[36:37], v[110:111], v[80:81]
	v_add_f64 v[80:81], v[184:185], v[82:83]
	v_add_f64 v[82:83], v[186:187], v[96:97]
	v_add_f64 v[96:97], v[188:189], v[98:99]
	v_add_f64 v[98:99], v[190:191], v[100:101]
	v_add_f64 v[30:31], v[30:31], v[88:89]
	v_add_f64 v[46:47], v[46:47], v[156:157]
	v_fma_f64 v[132:133], v[70:71], s[12:13], v[66:67]
	v_fma_f64 v[64:65], v[64:65], s[14:15], -v[68:69]
	v_add_f64 v[26:27], v[120:121], v[26:27]
	v_add_f64 v[88:89], v[122:123], v[104:105]
	v_fma_f64 v[66:67], v[70:71], s[16:17], v[66:67]
	v_add_f64 v[74:75], v[74:75], v[92:93]
	v_add_f64 v[10:11], v[10:11], v[32:33]
	;; [unrolled: 1-line block ×4, first 2 shown]
	v_fma_f64 v[40:41], v[70:71], s[0:1], v[134:135]
	v_add_f64 v[18:19], v[108:109], v[18:19]
	v_add_f64 v[24:25], v[118:119], v[24:25]
	v_fma_f64 v[32:33], v[72:73], s[8:9], v[144:145]
	v_fma_f64 v[38:39], v[76:77], s[0:1], v[146:147]
	;; [unrolled: 1-line block ×11, first 2 shown]
	v_add_f64 v[76:77], v[128:129], v[84:85]
	v_add_f64 v[14:15], v[34:35], v[14:15]
	;; [unrolled: 1-line block ×6, first 2 shown]
	v_fma_f64 v[42:43], v[72:73], s[8:9], -v[144:145]
	v_fma_f64 v[118:119], v[72:73], s[20:21], v[78:79]
	v_fma_f64 v[70:71], v[72:73], s[34:35], -v[140:141]
	v_add_f64 v[58:59], v[194:195], v[80:81]
	v_add_f64 v[60:61], v[196:197], v[82:83]
	;; [unrolled: 1-line block ×6, first 2 shown]
	v_fma_f64 v[104:105], v[72:73], s[26:27], -v[148:149]
	v_fma_f64 v[114:115], v[72:73], s[14:15], -v[152:153]
	v_add_f64 v[26:27], v[106:107], v[26:27]
	v_add_f64 v[80:81], v[132:133], v[88:89]
	v_fma_f64 v[72:73], v[72:73], s[20:21], -v[78:79]
	v_add_f64 v[46:47], v[90:91], v[74:75]
	v_add_f64 v[10:11], v[64:65], v[10:11]
	;; [unrolled: 1-line block ×8, first 2 shown]
	s_mul_i32 s0, s5, 0x370
	s_mul_hi_u32 s1, s4, 0x370
	v_add_f64 v[8:9], v[8:9], v[54:55]
	v_add_f64 v[4:5], v[4:5], v[50:51]
	;; [unrolled: 1-line block ×22, first 2 shown]
	s_clause 0x1
	scratch_load_b64 v[0:1], off, off offset:148
	scratch_load_b32 v7, off, off offset:144
	v_add_f64 v[50:51], v[8:9], v[52:53]
	v_add_f64 v[52:53], v[4:5], v[48:49]
	;; [unrolled: 1-line block ×3, first 2 shown]
	ds_store_b128 v193, v[58:61] offset:1760
	ds_store_b128 v193, v[66:69] offset:2640
	;; [unrolled: 1-line block ×9, first 2 shown]
	ds_store_b128 v193, v[50:53]
	ds_store_b128 v193, v[44:47] offset:880
	s_waitcnt vmcnt(0) lgkmcnt(0)
	s_barrier
	buffer_gl0_inv
	ds_load_b128 v[44:47], v193
	ds_load_b128 v[48:51], v193 offset:880
	ds_load_b128 v[52:55], v193 offset:1760
	;; [unrolled: 1-line block ×10, first 2 shown]
	s_clause 0x1
	scratch_load_b128 v[96:99], off, off offset:64
	scratch_load_b128 v[112:115], off, off offset:188
	v_mov_b32_e32 v6, v0
	v_mad_u64_u32 v[2:3], null, s4, v7, 0
	s_delay_alu instid0(VALU_DEP_2) | instskip(NEXT) | instid1(VALU_DEP_1)
	v_mad_u64_u32 v[0:1], null, s6, v6, 0
	v_mad_u64_u32 v[4:5], null, s7, v6, v[1:2]
	s_delay_alu instid0(VALU_DEP_1) | instskip(SKIP_1) | instid1(VALU_DEP_1)
	v_mad_u64_u32 v[5:6], null, s5, v7, v[3:4]
	v_mov_b32_e32 v1, v4
	v_lshlrev_b64 v[0:1], 4, v[0:1]
	s_delay_alu instid0(VALU_DEP_3) | instskip(NEXT) | instid1(VALU_DEP_1)
	v_mov_b32_e32 v3, v5
	v_lshlrev_b64 v[2:3], 4, v[2:3]
	s_delay_alu instid0(VALU_DEP_3) | instskip(NEXT) | instid1(VALU_DEP_4)
	v_add_co_u32 v0, vcc_lo, s2, v0
	v_add_co_ci_u32_e32 v1, vcc_lo, s3, v1, vcc_lo
	s_mul_i32 s2, s4, 0x370
	s_delay_alu instid0(VALU_DEP_2) | instskip(NEXT) | instid1(VALU_DEP_2)
	v_add_co_u32 v92, vcc_lo, v0, v2
	v_add_co_ci_u32_e32 v93, vcc_lo, v1, v3, vcc_lo
	s_add_i32 s3, s1, s0
	s_delay_alu instid0(VALU_DEP_2) | instskip(NEXT) | instid1(VALU_DEP_2)
	v_add_co_u32 v94, vcc_lo, v92, s2
	v_add_co_ci_u32_e32 v95, vcc_lo, s3, v93, vcc_lo
	s_mov_b32 s0, 0xdfd760e6
	s_mov_b32 s1, 0x3f5b14bb
	s_waitcnt vmcnt(1) lgkmcnt(10)
	v_mul_f64 v[4:5], v[98:99], v[46:47]
	v_mul_f64 v[6:7], v[98:99], v[44:45]
	scratch_load_b128 v[98:101], off, off offset:80 ; 16-byte Folded Reload
	s_waitcnt vmcnt(1) lgkmcnt(5)
	v_mul_f64 v[24:25], v[114:115], v[66:67]
	v_mul_f64 v[26:27], v[114:115], v[64:65]
	scratch_load_b128 v[114:117], off, off offset:204 ; 16-byte Folded Reload
	v_fma_f64 v[0:1], v[96:97], v[44:45], v[4:5]
	v_fma_f64 v[2:3], v[96:97], v[46:47], -v[6:7]
	v_add_co_u32 v44, vcc_lo, v94, s2
	v_add_co_ci_u32_e32 v45, vcc_lo, s3, v95, vcc_lo
	s_delay_alu instid0(VALU_DEP_2) | instskip(NEXT) | instid1(VALU_DEP_2)
	v_add_co_u32 v46, vcc_lo, v44, s2
	v_add_co_ci_u32_e32 v47, vcc_lo, s3, v45, vcc_lo
	v_mul_f64 v[0:1], v[0:1], s[0:1]
	v_mul_f64 v[2:3], v[2:3], s[0:1]
	s_waitcnt vmcnt(1)
	v_mul_f64 v[8:9], v[100:101], v[50:51]
	v_mul_f64 v[10:11], v[100:101], v[48:49]
	scratch_load_b128 v[100:103], off, off offset:96 ; 16-byte Folded Reload
	s_waitcnt vmcnt(1) lgkmcnt(3)
	v_mul_f64 v[32:33], v[116:117], v[74:75]
	v_mul_f64 v[34:35], v[116:117], v[72:73]
	scratch_load_b128 v[116:119], off, off offset:220 ; 16-byte Folded Reload
	v_fma_f64 v[4:5], v[98:99], v[48:49], v[8:9]
	v_fma_f64 v[6:7], v[98:99], v[50:51], -v[10:11]
	v_add_co_u32 v48, vcc_lo, v46, s2
	v_add_co_ci_u32_e32 v49, vcc_lo, s3, v47, vcc_lo
	s_delay_alu instid0(VALU_DEP_2) | instskip(NEXT) | instid1(VALU_DEP_2)
	v_add_co_u32 v50, vcc_lo, v48, s2
	v_add_co_ci_u32_e32 v51, vcc_lo, s3, v49, vcc_lo
	v_mul_f64 v[4:5], v[4:5], s[0:1]
	v_mul_f64 v[6:7], v[6:7], s[0:1]
	s_waitcnt vmcnt(1)
	;; [unrolled: 17-line block ×3, first 2 shown]
	v_mul_f64 v[16:17], v[104:105], v[58:59]
	v_mul_f64 v[18:19], v[104:105], v[56:57]
	scratch_load_b128 v[104:107], off, off offset:128 ; 16-byte Folded Reload
	s_waitcnt vmcnt(1) lgkmcnt(0)
	v_mul_f64 v[88:89], v[120:121], v[86:87]
	v_mul_f64 v[90:91], v[120:121], v[84:85]
	v_fma_f64 v[12:13], v[102:103], v[56:57], v[16:17]
	v_fma_f64 v[14:15], v[102:103], v[58:59], -v[18:19]
	v_add_co_u32 v56, vcc_lo, v54, s2
	v_add_co_ci_u32_e32 v57, vcc_lo, s3, v55, vcc_lo
	s_delay_alu instid0(VALU_DEP_2) | instskip(NEXT) | instid1(VALU_DEP_2)
	v_add_co_u32 v58, vcc_lo, v56, s2
	v_add_co_ci_u32_e32 v59, vcc_lo, s3, v57, vcc_lo
	v_mul_f64 v[12:13], v[12:13], s[0:1]
	v_mul_f64 v[14:15], v[14:15], s[0:1]
	s_waitcnt vmcnt(0)
	v_mul_f64 v[20:21], v[106:107], v[62:63]
	v_mul_f64 v[22:23], v[106:107], v[60:61]
	scratch_load_b128 v[106:109], off, off offset:156 ; 16-byte Folded Reload
	v_fma_f64 v[16:17], v[104:105], v[60:61], v[20:21]
	v_fma_f64 v[18:19], v[104:105], v[62:63], -v[22:23]
	v_fma_f64 v[20:21], v[112:113], v[64:65], v[24:25]
	v_fma_f64 v[22:23], v[112:113], v[66:67], -v[26:27]
	v_add_co_u32 v60, vcc_lo, v58, s2
	v_add_co_ci_u32_e32 v61, vcc_lo, s3, v59, vcc_lo
	v_mul_f64 v[16:17], v[16:17], s[0:1]
	v_mul_f64 v[18:19], v[18:19], s[0:1]
	;; [unrolled: 1-line block ×4, first 2 shown]
	s_waitcnt vmcnt(0)
	v_mul_f64 v[28:29], v[108:109], v[70:71]
	v_mul_f64 v[30:31], v[108:109], v[68:69]
	scratch_load_b128 v[108:111], off, off offset:172 ; 16-byte Folded Reload
	v_fma_f64 v[24:25], v[106:107], v[68:69], v[28:29]
	v_fma_f64 v[26:27], v[106:107], v[70:71], -v[30:31]
	v_fma_f64 v[28:29], v[114:115], v[72:73], v[32:33]
	v_fma_f64 v[30:31], v[114:115], v[74:75], -v[34:35]
	s_delay_alu instid0(VALU_DEP_4) | instskip(NEXT) | instid1(VALU_DEP_4)
	v_mul_f64 v[24:25], v[24:25], s[0:1]
	v_mul_f64 v[26:27], v[26:27], s[0:1]
	s_delay_alu instid0(VALU_DEP_4) | instskip(NEXT) | instid1(VALU_DEP_4)
	v_mul_f64 v[28:29], v[28:29], s[0:1]
	v_mul_f64 v[30:31], v[30:31], s[0:1]
	s_waitcnt vmcnt(0)
	v_mul_f64 v[36:37], v[110:111], v[78:79]
	v_mul_f64 v[38:39], v[110:111], v[76:77]
	s_delay_alu instid0(VALU_DEP_2) | instskip(NEXT) | instid1(VALU_DEP_2)
	v_fma_f64 v[32:33], v[108:109], v[76:77], v[36:37]
	v_fma_f64 v[34:35], v[108:109], v[78:79], -v[38:39]
	v_fma_f64 v[36:37], v[116:117], v[80:81], v[40:41]
	v_fma_f64 v[38:39], v[116:117], v[82:83], -v[42:43]
	;; [unrolled: 2-line block ×3, first 2 shown]
	v_mul_f64 v[32:33], v[32:33], s[0:1]
	v_mul_f64 v[34:35], v[34:35], s[0:1]
	;; [unrolled: 1-line block ×6, first 2 shown]
	s_clause 0x4
	global_store_b128 v[92:93], v[0:3], off
	global_store_b128 v[94:95], v[4:7], off
	;; [unrolled: 1-line block ×11, first 2 shown]
.LBB0_10:
	s_nop 0
	s_sendmsg sendmsg(MSG_DEALLOC_VGPRS)
	s_endpgm
	.section	.rodata,"a",@progbits
	.p2align	6, 0x0
	.amdhsa_kernel bluestein_single_fwd_len605_dim1_dp_op_CI_CI
		.amdhsa_group_segment_fixed_size 9680
		.amdhsa_private_segment_fixed_size 364
		.amdhsa_kernarg_size 104
		.amdhsa_user_sgpr_count 15
		.amdhsa_user_sgpr_dispatch_ptr 0
		.amdhsa_user_sgpr_queue_ptr 0
		.amdhsa_user_sgpr_kernarg_segment_ptr 1
		.amdhsa_user_sgpr_dispatch_id 0
		.amdhsa_user_sgpr_private_segment_size 0
		.amdhsa_wavefront_size32 1
		.amdhsa_uses_dynamic_stack 0
		.amdhsa_enable_private_segment 1
		.amdhsa_system_sgpr_workgroup_id_x 1
		.amdhsa_system_sgpr_workgroup_id_y 0
		.amdhsa_system_sgpr_workgroup_id_z 0
		.amdhsa_system_sgpr_workgroup_info 0
		.amdhsa_system_vgpr_workitem_id 0
		.amdhsa_next_free_vgpr 256
		.amdhsa_next_free_sgpr 38
		.amdhsa_reserve_vcc 1
		.amdhsa_float_round_mode_32 0
		.amdhsa_float_round_mode_16_64 0
		.amdhsa_float_denorm_mode_32 3
		.amdhsa_float_denorm_mode_16_64 3
		.amdhsa_dx10_clamp 1
		.amdhsa_ieee_mode 1
		.amdhsa_fp16_overflow 0
		.amdhsa_workgroup_processor_mode 1
		.amdhsa_memory_ordered 1
		.amdhsa_forward_progress 0
		.amdhsa_shared_vgpr_count 0
		.amdhsa_exception_fp_ieee_invalid_op 0
		.amdhsa_exception_fp_denorm_src 0
		.amdhsa_exception_fp_ieee_div_zero 0
		.amdhsa_exception_fp_ieee_overflow 0
		.amdhsa_exception_fp_ieee_underflow 0
		.amdhsa_exception_fp_ieee_inexact 0
		.amdhsa_exception_int_div_zero 0
	.end_amdhsa_kernel
	.text
.Lfunc_end0:
	.size	bluestein_single_fwd_len605_dim1_dp_op_CI_CI, .Lfunc_end0-bluestein_single_fwd_len605_dim1_dp_op_CI_CI
                                        ; -- End function
	.section	.AMDGPU.csdata,"",@progbits
; Kernel info:
; codeLenInByte = 20780
; NumSgprs: 40
; NumVgprs: 256
; ScratchSize: 364
; MemoryBound: 0
; FloatMode: 240
; IeeeMode: 1
; LDSByteSize: 9680 bytes/workgroup (compile time only)
; SGPRBlocks: 4
; VGPRBlocks: 31
; NumSGPRsForWavesPerEU: 40
; NumVGPRsForWavesPerEU: 256
; Occupancy: 5
; WaveLimiterHint : 1
; COMPUTE_PGM_RSRC2:SCRATCH_EN: 1
; COMPUTE_PGM_RSRC2:USER_SGPR: 15
; COMPUTE_PGM_RSRC2:TRAP_HANDLER: 0
; COMPUTE_PGM_RSRC2:TGID_X_EN: 1
; COMPUTE_PGM_RSRC2:TGID_Y_EN: 0
; COMPUTE_PGM_RSRC2:TGID_Z_EN: 0
; COMPUTE_PGM_RSRC2:TIDIG_COMP_CNT: 0
	.text
	.p2alignl 7, 3214868480
	.fill 96, 4, 3214868480
	.type	__hip_cuid_e2d06d0836004973,@object ; @__hip_cuid_e2d06d0836004973
	.section	.bss,"aw",@nobits
	.globl	__hip_cuid_e2d06d0836004973
__hip_cuid_e2d06d0836004973:
	.byte	0                               ; 0x0
	.size	__hip_cuid_e2d06d0836004973, 1

	.ident	"AMD clang version 19.0.0git (https://github.com/RadeonOpenCompute/llvm-project roc-6.4.0 25133 c7fe45cf4b819c5991fe208aaa96edf142730f1d)"
	.section	".note.GNU-stack","",@progbits
	.addrsig
	.addrsig_sym __hip_cuid_e2d06d0836004973
	.amdgpu_metadata
---
amdhsa.kernels:
  - .args:
      - .actual_access:  read_only
        .address_space:  global
        .offset:         0
        .size:           8
        .value_kind:     global_buffer
      - .actual_access:  read_only
        .address_space:  global
        .offset:         8
        .size:           8
        .value_kind:     global_buffer
      - .actual_access:  read_only
        .address_space:  global
        .offset:         16
        .size:           8
        .value_kind:     global_buffer
      - .actual_access:  read_only
        .address_space:  global
        .offset:         24
        .size:           8
        .value_kind:     global_buffer
      - .actual_access:  read_only
        .address_space:  global
        .offset:         32
        .size:           8
        .value_kind:     global_buffer
      - .offset:         40
        .size:           8
        .value_kind:     by_value
      - .address_space:  global
        .offset:         48
        .size:           8
        .value_kind:     global_buffer
      - .address_space:  global
        .offset:         56
        .size:           8
        .value_kind:     global_buffer
      - .address_space:  global
        .offset:         64
        .size:           8
        .value_kind:     global_buffer
      - .address_space:  global
        .offset:         72
        .size:           8
        .value_kind:     global_buffer
      - .offset:         80
        .size:           4
        .value_kind:     by_value
      - .address_space:  global
        .offset:         88
        .size:           8
        .value_kind:     global_buffer
      - .address_space:  global
        .offset:         96
        .size:           8
        .value_kind:     global_buffer
    .group_segment_fixed_size: 9680
    .kernarg_segment_align: 8
    .kernarg_segment_size: 104
    .language:       OpenCL C
    .language_version:
      - 2
      - 0
    .max_flat_workgroup_size: 55
    .name:           bluestein_single_fwd_len605_dim1_dp_op_CI_CI
    .private_segment_fixed_size: 364
    .sgpr_count:     40
    .sgpr_spill_count: 0
    .symbol:         bluestein_single_fwd_len605_dim1_dp_op_CI_CI.kd
    .uniform_work_group_size: 1
    .uses_dynamic_stack: false
    .vgpr_count:     256
    .vgpr_spill_count: 106
    .wavefront_size: 32
    .workgroup_processor_mode: 1
amdhsa.target:   amdgcn-amd-amdhsa--gfx1100
amdhsa.version:
  - 1
  - 2
...

	.end_amdgpu_metadata
